;; amdgpu-corpus repo=ROCm/rocFFT kind=compiled arch=gfx1201 opt=O3
	.text
	.amdgcn_target "amdgcn-amd-amdhsa--gfx1201"
	.amdhsa_code_object_version 6
	.protected	fft_rtc_back_len1008_factors_2_2_2_2_3_3_7_wgs_56_tpt_56_halfLds_half_ip_CI_unitstride_sbrr_C2R_dirReg ; -- Begin function fft_rtc_back_len1008_factors_2_2_2_2_3_3_7_wgs_56_tpt_56_halfLds_half_ip_CI_unitstride_sbrr_C2R_dirReg
	.globl	fft_rtc_back_len1008_factors_2_2_2_2_3_3_7_wgs_56_tpt_56_halfLds_half_ip_CI_unitstride_sbrr_C2R_dirReg
	.p2align	8
	.type	fft_rtc_back_len1008_factors_2_2_2_2_3_3_7_wgs_56_tpt_56_halfLds_half_ip_CI_unitstride_sbrr_C2R_dirReg,@function
fft_rtc_back_len1008_factors_2_2_2_2_3_3_7_wgs_56_tpt_56_halfLds_half_ip_CI_unitstride_sbrr_C2R_dirReg: ; @fft_rtc_back_len1008_factors_2_2_2_2_3_3_7_wgs_56_tpt_56_halfLds_half_ip_CI_unitstride_sbrr_C2R_dirReg
; %bb.0:
	s_clause 0x2
	s_load_b128 s[4:7], s[0:1], 0x0
	s_load_b64 s[8:9], s[0:1], 0x50
	s_load_b64 s[10:11], s[0:1], 0x18
	v_mul_u32_u24_e32 v1, 0x493, v0
	v_mov_b32_e32 v3, 0
	s_delay_alu instid0(VALU_DEP_2) | instskip(NEXT) | instid1(VALU_DEP_1)
	v_lshrrev_b32_e32 v1, 16, v1
	v_add_nc_u32_e32 v5, ttmp9, v1
	v_mov_b32_e32 v1, 0
	v_mov_b32_e32 v2, 0
	;; [unrolled: 1-line block ×3, first 2 shown]
	s_wait_kmcnt 0x0
	v_cmp_lt_u64_e64 s2, s[6:7], 2
	s_delay_alu instid0(VALU_DEP_1)
	s_and_b32 vcc_lo, exec_lo, s2
	s_cbranch_vccnz .LBB0_8
; %bb.1:
	s_load_b64 s[2:3], s[0:1], 0x10
	v_mov_b32_e32 v1, 0
	v_mov_b32_e32 v2, 0
	s_add_nc_u64 s[12:13], s[10:11], 8
	s_mov_b64 s[14:15], 1
	s_wait_kmcnt 0x0
	s_add_nc_u64 s[16:17], s[2:3], 8
	s_mov_b32 s3, 0
.LBB0_2:                                ; =>This Inner Loop Header: Depth=1
	s_load_b64 s[18:19], s[16:17], 0x0
                                        ; implicit-def: $vgpr7_vgpr8
	s_mov_b32 s2, exec_lo
	s_wait_kmcnt 0x0
	v_or_b32_e32 v4, s19, v6
	s_delay_alu instid0(VALU_DEP_1)
	v_cmpx_ne_u64_e32 0, v[3:4]
	s_wait_alu 0xfffe
	s_xor_b32 s20, exec_lo, s2
	s_cbranch_execz .LBB0_4
; %bb.3:                                ;   in Loop: Header=BB0_2 Depth=1
	s_cvt_f32_u32 s2, s18
	s_cvt_f32_u32 s21, s19
	s_sub_nc_u64 s[24:25], 0, s[18:19]
	s_wait_alu 0xfffe
	s_delay_alu instid0(SALU_CYCLE_1) | instskip(SKIP_1) | instid1(SALU_CYCLE_2)
	s_fmamk_f32 s2, s21, 0x4f800000, s2
	s_wait_alu 0xfffe
	v_s_rcp_f32 s2, s2
	s_delay_alu instid0(TRANS32_DEP_1) | instskip(SKIP_1) | instid1(SALU_CYCLE_2)
	s_mul_f32 s2, s2, 0x5f7ffffc
	s_wait_alu 0xfffe
	s_mul_f32 s21, s2, 0x2f800000
	s_wait_alu 0xfffe
	s_delay_alu instid0(SALU_CYCLE_2) | instskip(SKIP_1) | instid1(SALU_CYCLE_2)
	s_trunc_f32 s21, s21
	s_wait_alu 0xfffe
	s_fmamk_f32 s2, s21, 0xcf800000, s2
	s_cvt_u32_f32 s23, s21
	s_wait_alu 0xfffe
	s_delay_alu instid0(SALU_CYCLE_1) | instskip(SKIP_1) | instid1(SALU_CYCLE_2)
	s_cvt_u32_f32 s22, s2
	s_wait_alu 0xfffe
	s_mul_u64 s[26:27], s[24:25], s[22:23]
	s_wait_alu 0xfffe
	s_mul_hi_u32 s29, s22, s27
	s_mul_i32 s28, s22, s27
	s_mul_hi_u32 s2, s22, s26
	s_mul_i32 s30, s23, s26
	s_wait_alu 0xfffe
	s_add_nc_u64 s[28:29], s[2:3], s[28:29]
	s_mul_hi_u32 s21, s23, s26
	s_mul_hi_u32 s31, s23, s27
	s_add_co_u32 s2, s28, s30
	s_wait_alu 0xfffe
	s_add_co_ci_u32 s2, s29, s21
	s_mul_i32 s26, s23, s27
	s_add_co_ci_u32 s27, s31, 0
	s_wait_alu 0xfffe
	s_add_nc_u64 s[26:27], s[2:3], s[26:27]
	s_wait_alu 0xfffe
	v_add_co_u32 v4, s2, s22, s26
	s_delay_alu instid0(VALU_DEP_1) | instskip(SKIP_1) | instid1(VALU_DEP_1)
	s_cmp_lg_u32 s2, 0
	s_add_co_ci_u32 s23, s23, s27
	v_readfirstlane_b32 s22, v4
	s_wait_alu 0xfffe
	s_delay_alu instid0(VALU_DEP_1)
	s_mul_u64 s[24:25], s[24:25], s[22:23]
	s_wait_alu 0xfffe
	s_mul_hi_u32 s27, s22, s25
	s_mul_i32 s26, s22, s25
	s_mul_hi_u32 s2, s22, s24
	s_mul_i32 s28, s23, s24
	s_wait_alu 0xfffe
	s_add_nc_u64 s[26:27], s[2:3], s[26:27]
	s_mul_hi_u32 s21, s23, s24
	s_mul_hi_u32 s22, s23, s25
	s_wait_alu 0xfffe
	s_add_co_u32 s2, s26, s28
	s_add_co_ci_u32 s2, s27, s21
	s_mul_i32 s24, s23, s25
	s_add_co_ci_u32 s25, s22, 0
	s_wait_alu 0xfffe
	s_add_nc_u64 s[24:25], s[2:3], s[24:25]
	s_wait_alu 0xfffe
	v_add_co_u32 v4, s2, v4, s24
	s_delay_alu instid0(VALU_DEP_1) | instskip(SKIP_1) | instid1(VALU_DEP_1)
	s_cmp_lg_u32 s2, 0
	s_add_co_ci_u32 s2, s23, s25
	v_mul_hi_u32 v13, v5, v4
	s_wait_alu 0xfffe
	v_mad_co_u64_u32 v[7:8], null, v5, s2, 0
	v_mad_co_u64_u32 v[9:10], null, v6, v4, 0
	;; [unrolled: 1-line block ×3, first 2 shown]
	s_delay_alu instid0(VALU_DEP_3) | instskip(SKIP_1) | instid1(VALU_DEP_4)
	v_add_co_u32 v4, vcc_lo, v13, v7
	s_wait_alu 0xfffd
	v_add_co_ci_u32_e32 v7, vcc_lo, 0, v8, vcc_lo
	s_delay_alu instid0(VALU_DEP_2) | instskip(SKIP_1) | instid1(VALU_DEP_2)
	v_add_co_u32 v4, vcc_lo, v4, v9
	s_wait_alu 0xfffd
	v_add_co_ci_u32_e32 v4, vcc_lo, v7, v10, vcc_lo
	s_wait_alu 0xfffd
	v_add_co_ci_u32_e32 v7, vcc_lo, 0, v12, vcc_lo
	s_delay_alu instid0(VALU_DEP_2) | instskip(SKIP_1) | instid1(VALU_DEP_2)
	v_add_co_u32 v4, vcc_lo, v4, v11
	s_wait_alu 0xfffd
	v_add_co_ci_u32_e32 v9, vcc_lo, 0, v7, vcc_lo
	s_delay_alu instid0(VALU_DEP_2) | instskip(SKIP_1) | instid1(VALU_DEP_3)
	v_mul_lo_u32 v10, s19, v4
	v_mad_co_u64_u32 v[7:8], null, s18, v4, 0
	v_mul_lo_u32 v11, s18, v9
	s_delay_alu instid0(VALU_DEP_2) | instskip(NEXT) | instid1(VALU_DEP_2)
	v_sub_co_u32 v7, vcc_lo, v5, v7
	v_add3_u32 v8, v8, v11, v10
	s_delay_alu instid0(VALU_DEP_1) | instskip(SKIP_1) | instid1(VALU_DEP_1)
	v_sub_nc_u32_e32 v10, v6, v8
	s_wait_alu 0xfffd
	v_subrev_co_ci_u32_e64 v10, s2, s19, v10, vcc_lo
	v_add_co_u32 v11, s2, v4, 2
	s_wait_alu 0xf1ff
	v_add_co_ci_u32_e64 v12, s2, 0, v9, s2
	v_sub_co_u32 v13, s2, v7, s18
	v_sub_co_ci_u32_e32 v8, vcc_lo, v6, v8, vcc_lo
	s_wait_alu 0xf1ff
	v_subrev_co_ci_u32_e64 v10, s2, 0, v10, s2
	s_delay_alu instid0(VALU_DEP_3) | instskip(NEXT) | instid1(VALU_DEP_3)
	v_cmp_le_u32_e32 vcc_lo, s18, v13
	v_cmp_eq_u32_e64 s2, s19, v8
	s_wait_alu 0xfffd
	v_cndmask_b32_e64 v13, 0, -1, vcc_lo
	v_cmp_le_u32_e32 vcc_lo, s19, v10
	s_wait_alu 0xfffd
	v_cndmask_b32_e64 v14, 0, -1, vcc_lo
	v_cmp_le_u32_e32 vcc_lo, s18, v7
	;; [unrolled: 3-line block ×3, first 2 shown]
	s_wait_alu 0xfffd
	v_cndmask_b32_e64 v15, 0, -1, vcc_lo
	v_cmp_eq_u32_e32 vcc_lo, s19, v10
	s_wait_alu 0xf1ff
	s_delay_alu instid0(VALU_DEP_2)
	v_cndmask_b32_e64 v7, v15, v7, s2
	s_wait_alu 0xfffd
	v_cndmask_b32_e32 v10, v14, v13, vcc_lo
	v_add_co_u32 v13, vcc_lo, v4, 1
	s_wait_alu 0xfffd
	v_add_co_ci_u32_e32 v14, vcc_lo, 0, v9, vcc_lo
	s_delay_alu instid0(VALU_DEP_3) | instskip(SKIP_2) | instid1(VALU_DEP_3)
	v_cmp_ne_u32_e32 vcc_lo, 0, v10
	s_wait_alu 0xfffd
	v_cndmask_b32_e32 v10, v13, v11, vcc_lo
	v_cndmask_b32_e32 v8, v14, v12, vcc_lo
	v_cmp_ne_u32_e32 vcc_lo, 0, v7
	s_wait_alu 0xfffd
	s_delay_alu instid0(VALU_DEP_2)
	v_dual_cndmask_b32 v7, v4, v10 :: v_dual_cndmask_b32 v8, v9, v8
.LBB0_4:                                ;   in Loop: Header=BB0_2 Depth=1
	s_wait_alu 0xfffe
	s_and_not1_saveexec_b32 s2, s20
	s_cbranch_execz .LBB0_6
; %bb.5:                                ;   in Loop: Header=BB0_2 Depth=1
	v_cvt_f32_u32_e32 v4, s18
	s_sub_co_i32 s20, 0, s18
	s_delay_alu instid0(VALU_DEP_1) | instskip(NEXT) | instid1(TRANS32_DEP_1)
	v_rcp_iflag_f32_e32 v4, v4
	v_mul_f32_e32 v4, 0x4f7ffffe, v4
	s_delay_alu instid0(VALU_DEP_1) | instskip(SKIP_1) | instid1(VALU_DEP_1)
	v_cvt_u32_f32_e32 v4, v4
	s_wait_alu 0xfffe
	v_mul_lo_u32 v7, s20, v4
	s_delay_alu instid0(VALU_DEP_1) | instskip(NEXT) | instid1(VALU_DEP_1)
	v_mul_hi_u32 v7, v4, v7
	v_add_nc_u32_e32 v4, v4, v7
	s_delay_alu instid0(VALU_DEP_1) | instskip(NEXT) | instid1(VALU_DEP_1)
	v_mul_hi_u32 v4, v5, v4
	v_mul_lo_u32 v7, v4, s18
	v_add_nc_u32_e32 v8, 1, v4
	s_delay_alu instid0(VALU_DEP_2) | instskip(NEXT) | instid1(VALU_DEP_1)
	v_sub_nc_u32_e32 v7, v5, v7
	v_subrev_nc_u32_e32 v9, s18, v7
	v_cmp_le_u32_e32 vcc_lo, s18, v7
	s_wait_alu 0xfffd
	s_delay_alu instid0(VALU_DEP_2) | instskip(NEXT) | instid1(VALU_DEP_1)
	v_dual_cndmask_b32 v7, v7, v9 :: v_dual_cndmask_b32 v4, v4, v8
	v_cmp_le_u32_e32 vcc_lo, s18, v7
	s_delay_alu instid0(VALU_DEP_2) | instskip(SKIP_1) | instid1(VALU_DEP_1)
	v_add_nc_u32_e32 v8, 1, v4
	s_wait_alu 0xfffd
	v_dual_cndmask_b32 v7, v4, v8 :: v_dual_mov_b32 v8, v3
.LBB0_6:                                ;   in Loop: Header=BB0_2 Depth=1
	s_wait_alu 0xfffe
	s_or_b32 exec_lo, exec_lo, s2
	s_load_b64 s[20:21], s[12:13], 0x0
	s_delay_alu instid0(VALU_DEP_1)
	v_mul_lo_u32 v4, v8, s18
	v_mul_lo_u32 v11, v7, s19
	v_mad_co_u64_u32 v[9:10], null, v7, s18, 0
	s_add_nc_u64 s[14:15], s[14:15], 1
	s_add_nc_u64 s[12:13], s[12:13], 8
	s_wait_alu 0xfffe
	v_cmp_ge_u64_e64 s2, s[14:15], s[6:7]
	s_add_nc_u64 s[16:17], s[16:17], 8
	s_delay_alu instid0(VALU_DEP_2) | instskip(NEXT) | instid1(VALU_DEP_3)
	v_add3_u32 v4, v10, v11, v4
	v_sub_co_u32 v5, vcc_lo, v5, v9
	s_wait_alu 0xfffd
	s_delay_alu instid0(VALU_DEP_2) | instskip(SKIP_3) | instid1(VALU_DEP_2)
	v_sub_co_ci_u32_e32 v4, vcc_lo, v6, v4, vcc_lo
	s_and_b32 vcc_lo, exec_lo, s2
	s_wait_kmcnt 0x0
	v_mul_lo_u32 v6, s21, v5
	v_mul_lo_u32 v4, s20, v4
	v_mad_co_u64_u32 v[1:2], null, s20, v5, v[1:2]
	s_delay_alu instid0(VALU_DEP_1)
	v_add3_u32 v2, v6, v2, v4
	s_wait_alu 0xfffe
	s_cbranch_vccnz .LBB0_9
; %bb.7:                                ;   in Loop: Header=BB0_2 Depth=1
	v_dual_mov_b32 v5, v7 :: v_dual_mov_b32 v6, v8
	s_branch .LBB0_2
.LBB0_8:
	v_dual_mov_b32 v8, v6 :: v_dual_mov_b32 v7, v5
.LBB0_9:
	s_lshl_b64 s[2:3], s[6:7], 3
	v_mul_hi_u32 v5, 0x4924925, v0
	s_wait_alu 0xfffe
	s_add_nc_u64 s[2:3], s[10:11], s[2:3]
	s_load_b64 s[2:3], s[2:3], 0x0
	s_load_b64 s[0:1], s[0:1], 0x20
	s_wait_kmcnt 0x0
	v_mul_lo_u32 v3, s2, v8
	v_mul_lo_u32 v4, s3, v7
	v_mad_co_u64_u32 v[1:2], null, s2, v7, v[1:2]
	v_cmp_gt_u64_e32 vcc_lo, s[0:1], v[7:8]
	s_delay_alu instid0(VALU_DEP_2) | instskip(SKIP_1) | instid1(VALU_DEP_2)
	v_add3_u32 v2, v4, v2, v3
	v_mul_u32_u24_e32 v4, 56, v5
	v_lshlrev_b64_e32 v[2:3], 2, v[1:2]
	s_delay_alu instid0(VALU_DEP_2)
	v_sub_nc_u32_e32 v0, v0, v4
	s_and_saveexec_b32 s1, vcc_lo
	s_cbranch_execz .LBB0_13
; %bb.10:
	v_mov_b32_e32 v1, 0
	s_delay_alu instid0(VALU_DEP_3) | instskip(SKIP_2) | instid1(VALU_DEP_3)
	v_add_co_u32 v4, s0, s8, v2
	s_wait_alu 0xf1ff
	v_add_co_ci_u32_e64 v5, s0, s9, v3, s0
	v_lshlrev_b64_e32 v[6:7], 2, v[0:1]
	s_mov_b32 s2, exec_lo
	s_delay_alu instid0(VALU_DEP_1) | instskip(SKIP_1) | instid1(VALU_DEP_2)
	v_add_co_u32 v6, s0, v4, v6
	s_wait_alu 0xf1ff
	v_add_co_ci_u32_e64 v7, s0, v5, v7, s0
	s_clause 0x11
	global_load_b32 v8, v[6:7], off
	global_load_b32 v9, v[6:7], off offset:224
	global_load_b32 v10, v[6:7], off offset:448
	;; [unrolled: 1-line block ×17, first 2 shown]
	v_lshl_add_u32 v7, v0, 2, 0
	s_delay_alu instid0(VALU_DEP_1)
	v_add_nc_u32_e32 v26, 0x400, v7
	v_add_nc_u32_e32 v25, 0x200, v7
	v_add_nc_u32_e32 v27, 0x800, v7
	v_add_nc_u32_e32 v28, 0xc00, v7
	s_wait_loadcnt 0x10
	ds_store_2addr_b32 v7, v8, v9 offset1:56
	s_wait_loadcnt 0xe
	ds_store_2addr_b32 v7, v10, v11 offset0:112 offset1:168
	s_wait_loadcnt 0xc
	ds_store_2addr_b32 v25, v12, v13 offset0:96 offset1:152
	;; [unrolled: 2-line block ×8, first 2 shown]
	v_cmpx_eq_u32_e32 55, v0
	s_cbranch_execz .LBB0_12
; %bb.11:
	global_load_b32 v4, v[4:5], off offset:4032
	v_mov_b32_e32 v0, 55
	s_wait_loadcnt 0x0
	ds_store_b32 v1, v4 offset:4032
.LBB0_12:
	s_wait_alu 0xfffe
	s_or_b32 exec_lo, exec_lo, s2
.LBB0_13:
	s_wait_alu 0xfffe
	s_or_b32 exec_lo, exec_lo, s1
	v_lshlrev_b32_e32 v1, 2, v0
	global_wb scope:SCOPE_SE
	s_wait_dscnt 0x0
	s_barrier_signal -1
	s_barrier_wait -1
	global_inv scope:SCOPE_SE
	v_add_nc_u32_e32 v24, 0, v1
	v_sub_nc_u32_e32 v9, 0, v1
	s_mov_b32 s1, exec_lo
                                        ; implicit-def: $vgpr4_vgpr5
	ds_load_u16 v8, v24
	ds_load_u16 v10, v9 offset:4032
	s_wait_dscnt 0x0
	v_add_f16_e32 v7, v10, v8
	v_sub_f16_e32 v6, v8, v10
	v_cmpx_ne_u32_e32 0, v0
	s_wait_alu 0xfffe
	s_xor_b32 s1, exec_lo, s1
	s_cbranch_execz .LBB0_15
; %bb.14:
	v_mov_b32_e32 v1, 0
	v_add_f16_e32 v7, v10, v8
	v_sub_f16_e32 v8, v8, v10
	s_delay_alu instid0(VALU_DEP_3) | instskip(NEXT) | instid1(VALU_DEP_1)
	v_lshlrev_b64_e32 v[4:5], 2, v[0:1]
	v_add_co_u32 v4, s0, s4, v4
	s_wait_alu 0xf1ff
	s_delay_alu instid0(VALU_DEP_2)
	v_add_co_ci_u32_e64 v5, s0, s5, v5, s0
	global_load_b32 v4, v[4:5], off offset:4024
	ds_load_u16 v5, v9 offset:4034
	ds_load_u16 v6, v24 offset:2
	s_wait_dscnt 0x0
	v_add_f16_e32 v10, v5, v6
	v_sub_f16_e32 v5, v6, v5
	s_wait_loadcnt 0x0
	v_lshrrev_b32_e32 v11, 16, v4
	s_delay_alu instid0(VALU_DEP_1) | instskip(NEXT) | instid1(VALU_DEP_3)
	v_fma_f16 v12, -v8, v11, v7
	v_fma_f16 v13, v10, v11, -v5
	v_fma_f16 v6, v10, v11, v5
	v_fma_f16 v7, v8, v11, v7
	s_delay_alu instid0(VALU_DEP_4) | instskip(NEXT) | instid1(VALU_DEP_4)
	v_fmac_f16_e32 v12, v4, v10
	v_fmac_f16_e32 v13, v8, v4
	s_delay_alu instid0(VALU_DEP_4) | instskip(NEXT) | instid1(VALU_DEP_4)
	v_fmac_f16_e32 v6, v8, v4
	v_fma_f16 v7, -v4, v10, v7
	v_dual_mov_b32 v5, v1 :: v_dual_mov_b32 v4, v0
	s_delay_alu instid0(VALU_DEP_4)
	v_pack_b32_f16 v8, v12, v13
	ds_store_b32 v9, v8 offset:4032
.LBB0_15:
	s_wait_alu 0xfffe
	s_and_not1_saveexec_b32 s0, s1
	s_cbranch_execz .LBB0_17
; %bb.16:
	v_mov_b32_e32 v1, 0
	ds_load_b32 v4, v1 offset:2016
	s_wait_dscnt 0x0
	v_pk_mul_f16 v8, 0xc0004000, v4
	v_mov_b32_e32 v4, 0
	v_mov_b32_e32 v5, 0
	ds_store_b32 v1, v8 offset:2016
.LBB0_17:
	s_wait_alu 0xfffe
	s_or_b32 exec_lo, exec_lo, s0
	v_lshlrev_b64_e32 v[4:5], 2, v[4:5]
	s_add_nc_u64 s[0:1], s[4:5], 0xfb8
	v_perm_b32 v6, v6, v7, 0x5040100
	v_add_nc_u32_e32 v25, 0x400, v24
	v_add_nc_u32_e32 v26, 0x800, v24
	v_add_nc_u32_e32 v27, 0xc00, v24
	s_wait_alu 0xfffe
	v_add_co_u32 v4, s0, s0, v4
	s_wait_alu 0xf1ff
	v_add_co_ci_u32_e64 v5, s0, s1, v5, s0
	v_and_b32_e32 v35, 1, v0
	v_add_nc_u32_e32 v23, 0x150, v0
	v_add_nc_u32_e32 v32, 0x188, v0
	s_clause 0x5
	global_load_b32 v1, v[4:5], off offset:224
	global_load_b32 v8, v[4:5], off offset:448
	;; [unrolled: 1-line block ×6, first 2 shown]
	ds_store_b32 v24, v6
	global_load_b32 v6, v[4:5], off offset:1568
	ds_load_b32 v7, v24 offset:224
	ds_load_b32 v14, v9 offset:3808
	global_load_b32 v4, v[4:5], off offset:1792
	v_or_b32_e32 v33, 0x1c0, v0
	v_lshl_add_u32 v34, v0, 2, v24
	v_lshlrev_b32_e32 v44, 2, v35
	v_lshl_add_u32 v41, v23, 3, 0
	v_lshl_add_u32 v42, v32, 3, 0
	;; [unrolled: 1-line block ×3, first 2 shown]
	v_lshlrev_b32_e32 v23, 1, v23
	v_lshlrev_b32_e32 v32, 1, v32
	;; [unrolled: 1-line block ×3, first 2 shown]
	v_cmp_gt_u32_e64 s0, 48, v0
	s_wait_dscnt 0x1
	v_lshrrev_b32_e32 v15, 16, v7
	s_wait_dscnt 0x0
	v_lshrrev_b32_e32 v16, 16, v14
	v_add_f16_e32 v5, v7, v14
	v_sub_f16_e32 v7, v7, v14
	s_delay_alu instid0(VALU_DEP_3) | instskip(SKIP_3) | instid1(VALU_DEP_1)
	v_add_f16_e32 v14, v16, v15
	v_sub_f16_e32 v15, v15, v16
	s_wait_loadcnt 0x7
	v_lshrrev_b32_e32 v17, 16, v1
	v_fma_f16 v16, v7, v17, v5
	s_delay_alu instid0(VALU_DEP_3) | instskip(SKIP_2) | instid1(VALU_DEP_4)
	v_fma_f16 v18, v14, v17, v15
	v_fma_f16 v5, -v7, v17, v5
	v_fma_f16 v15, v14, v17, -v15
	v_fma_f16 v16, -v1, v14, v16
	s_delay_alu instid0(VALU_DEP_4) | instskip(NEXT) | instid1(VALU_DEP_4)
	v_fmac_f16_e32 v18, v7, v1
	v_fmac_f16_e32 v5, v1, v14
	s_delay_alu instid0(VALU_DEP_4) | instskip(NEXT) | instid1(VALU_DEP_3)
	v_fmac_f16_e32 v15, v7, v1
	v_pack_b32_f16 v1, v16, v18
	s_delay_alu instid0(VALU_DEP_2)
	v_pack_b32_f16 v5, v5, v15
	s_wait_loadcnt 0x6
	v_lshrrev_b32_e32 v15, 16, v8
	ds_store_b32 v24, v1 offset:224
	ds_store_b32 v9, v5 offset:3808
	ds_load_b32 v1, v24 offset:448
	ds_load_b32 v5, v9 offset:3584
	s_wait_dscnt 0x1
	v_lshrrev_b32_e32 v7, 16, v1
	s_wait_dscnt 0x0
	v_lshrrev_b32_e32 v14, 16, v5
	v_add_f16_e32 v16, v1, v5
	v_sub_f16_e32 v1, v1, v5
	s_delay_alu instid0(VALU_DEP_3) | instskip(SKIP_1) | instid1(VALU_DEP_3)
	v_add_f16_e32 v5, v14, v7
	v_sub_f16_e32 v7, v7, v14
	v_fma_f16 v14, v1, v15, v16
	v_fma_f16 v16, -v1, v15, v16
	s_delay_alu instid0(VALU_DEP_3) | instskip(SKIP_1) | instid1(VALU_DEP_4)
	v_fma_f16 v17, v5, v15, v7
	v_fma_f16 v7, v5, v15, -v7
	v_fma_f16 v14, -v8, v5, v14
	s_delay_alu instid0(VALU_DEP_4) | instskip(NEXT) | instid1(VALU_DEP_4)
	v_fmac_f16_e32 v16, v8, v5
	v_fmac_f16_e32 v17, v1, v8
	s_delay_alu instid0(VALU_DEP_4) | instskip(NEXT) | instid1(VALU_DEP_2)
	v_fmac_f16_e32 v7, v1, v8
	v_pack_b32_f16 v1, v14, v17
	s_delay_alu instid0(VALU_DEP_2)
	v_pack_b32_f16 v5, v16, v7
	ds_store_b32 v24, v1 offset:448
	ds_store_b32 v9, v5 offset:3584
	ds_load_b32 v1, v24 offset:672
	ds_load_b32 v5, v9 offset:3360
	s_wait_loadcnt 0x5
	v_lshrrev_b32_e32 v14, 16, v10
	s_wait_dscnt 0x1
	v_lshrrev_b32_e32 v7, 16, v1
	s_wait_dscnt 0x0
	v_lshrrev_b32_e32 v8, 16, v5
	v_add_f16_e32 v15, v1, v5
	v_sub_f16_e32 v1, v1, v5
	s_delay_alu instid0(VALU_DEP_3) | instskip(SKIP_1) | instid1(VALU_DEP_3)
	v_add_f16_e32 v5, v8, v7
	v_sub_f16_e32 v7, v7, v8
	v_fma_f16 v8, v1, v14, v15
	v_fma_f16 v15, -v1, v14, v15
	s_delay_alu instid0(VALU_DEP_3) | instskip(SKIP_1) | instid1(VALU_DEP_4)
	v_fma_f16 v16, v5, v14, v7
	v_fma_f16 v7, v5, v14, -v7
	v_fma_f16 v8, -v10, v5, v8
	s_delay_alu instid0(VALU_DEP_4) | instskip(NEXT) | instid1(VALU_DEP_4)
	v_fmac_f16_e32 v15, v10, v5
	v_fmac_f16_e32 v16, v1, v10
	s_delay_alu instid0(VALU_DEP_4) | instskip(SKIP_2) | instid1(VALU_DEP_3)
	v_fmac_f16_e32 v7, v1, v10
	s_wait_loadcnt 0x4
	v_lshrrev_b32_e32 v10, 16, v11
	v_pack_b32_f16 v1, v8, v16
	s_delay_alu instid0(VALU_DEP_3)
	v_pack_b32_f16 v5, v15, v7
	ds_store_b32 v24, v1 offset:672
	ds_store_b32 v9, v5 offset:3360
	ds_load_b32 v1, v24 offset:896
	ds_load_b32 v5, v9 offset:3136
	s_wait_dscnt 0x1
	v_lshrrev_b32_e32 v7, 16, v1
	s_wait_dscnt 0x0
	v_lshrrev_b32_e32 v8, 16, v5
	v_add_f16_e32 v14, v1, v5
	v_sub_f16_e32 v1, v1, v5
	s_delay_alu instid0(VALU_DEP_3) | instskip(SKIP_1) | instid1(VALU_DEP_3)
	v_add_f16_e32 v5, v8, v7
	v_sub_f16_e32 v7, v7, v8
	v_fma_f16 v8, v1, v10, v14
	v_fma_f16 v14, -v1, v10, v14
	s_delay_alu instid0(VALU_DEP_3) | instskip(SKIP_1) | instid1(VALU_DEP_4)
	v_fma_f16 v15, v5, v10, v7
	v_fma_f16 v7, v5, v10, -v7
	v_fma_f16 v8, -v11, v5, v8
	s_delay_alu instid0(VALU_DEP_4) | instskip(SKIP_4) | instid1(VALU_DEP_2)
	v_fmac_f16_e32 v14, v11, v5
	s_wait_loadcnt 0x3
	v_lshrrev_b32_e32 v10, 16, v12
	v_fmac_f16_e32 v15, v1, v11
	v_fmac_f16_e32 v7, v1, v11
	v_pack_b32_f16 v1, v8, v15
	s_delay_alu instid0(VALU_DEP_2)
	v_pack_b32_f16 v5, v14, v7
	ds_store_b32 v24, v1 offset:896
	ds_store_b32 v9, v5 offset:3136
	ds_load_b32 v1, v24 offset:1120
	ds_load_b32 v5, v9 offset:2912
	s_wait_dscnt 0x1
	v_lshrrev_b32_e32 v7, 16, v1
	s_wait_dscnt 0x0
	v_lshrrev_b32_e32 v8, 16, v5
	v_add_f16_e32 v11, v1, v5
	v_sub_f16_e32 v1, v1, v5
	s_delay_alu instid0(VALU_DEP_3) | instskip(SKIP_1) | instid1(VALU_DEP_3)
	v_add_f16_e32 v5, v8, v7
	v_sub_f16_e32 v7, v7, v8
	v_fma_f16 v8, v1, v10, v11
	v_fma_f16 v11, -v1, v10, v11
	s_delay_alu instid0(VALU_DEP_3) | instskip(SKIP_1) | instid1(VALU_DEP_4)
	v_fma_f16 v14, v5, v10, v7
	v_fma_f16 v7, v5, v10, -v7
	v_fma_f16 v8, -v12, v5, v8
	s_delay_alu instid0(VALU_DEP_4) | instskip(SKIP_4) | instid1(VALU_DEP_2)
	v_fmac_f16_e32 v11, v12, v5
	s_wait_loadcnt 0x2
	v_lshrrev_b32_e32 v10, 16, v13
	v_fmac_f16_e32 v14, v1, v12
	v_fmac_f16_e32 v7, v1, v12
	v_pack_b32_f16 v1, v8, v14
	s_delay_alu instid0(VALU_DEP_2)
	v_pack_b32_f16 v5, v11, v7
	ds_store_b32 v24, v1 offset:1120
	ds_store_b32 v9, v5 offset:2912
	ds_load_b32 v1, v24 offset:1344
	ds_load_b32 v5, v9 offset:2688
	s_wait_loadcnt 0x0
	v_lshrrev_b32_e32 v14, 16, v4
	s_wait_dscnt 0x1
	v_lshrrev_b32_e32 v7, 16, v1
	s_wait_dscnt 0x0
	v_lshrrev_b32_e32 v8, 16, v5
	v_add_f16_e32 v11, v1, v5
	v_sub_f16_e32 v1, v1, v5
	s_delay_alu instid0(VALU_DEP_3) | instskip(SKIP_1) | instid1(VALU_DEP_3)
	v_add_f16_e32 v5, v8, v7
	v_sub_f16_e32 v7, v7, v8
	v_fma_f16 v8, v1, v10, v11
	v_fma_f16 v11, -v1, v10, v11
	s_delay_alu instid0(VALU_DEP_3) | instskip(SKIP_1) | instid1(VALU_DEP_4)
	v_fma_f16 v12, v5, v10, v7
	v_fma_f16 v7, v5, v10, -v7
	v_fma_f16 v8, -v13, v5, v8
	s_delay_alu instid0(VALU_DEP_4) | instskip(SKIP_3) | instid1(VALU_DEP_2)
	v_fmac_f16_e32 v11, v13, v5
	v_lshrrev_b32_e32 v10, 16, v6
	v_fmac_f16_e32 v12, v1, v13
	v_fmac_f16_e32 v7, v1, v13
	v_pack_b32_f16 v1, v8, v12
	s_delay_alu instid0(VALU_DEP_2)
	v_pack_b32_f16 v5, v11, v7
	ds_store_b32 v24, v1 offset:1344
	ds_store_b32 v9, v5 offset:2688
	ds_load_b32 v1, v24 offset:1568
	ds_load_b32 v5, v9 offset:2464
	s_wait_dscnt 0x1
	v_lshrrev_b32_e32 v7, 16, v1
	s_wait_dscnt 0x0
	v_lshrrev_b32_e32 v8, 16, v5
	v_add_f16_e32 v11, v1, v5
	v_sub_f16_e32 v1, v1, v5
	s_delay_alu instid0(VALU_DEP_3) | instskip(SKIP_1) | instid1(VALU_DEP_3)
	v_add_f16_e32 v5, v8, v7
	v_sub_f16_e32 v7, v7, v8
	v_fma_f16 v8, v1, v10, v11
	v_fma_f16 v11, -v1, v10, v11
	s_delay_alu instid0(VALU_DEP_3) | instskip(SKIP_1) | instid1(VALU_DEP_4)
	v_fma_f16 v12, v5, v10, v7
	v_fma_f16 v7, v5, v10, -v7
	v_fma_f16 v8, -v6, v5, v8
	s_delay_alu instid0(VALU_DEP_4) | instskip(NEXT) | instid1(VALU_DEP_4)
	v_fmac_f16_e32 v11, v6, v5
	v_fmac_f16_e32 v12, v1, v6
	s_delay_alu instid0(VALU_DEP_4) | instskip(SKIP_1) | instid1(VALU_DEP_3)
	v_fmac_f16_e32 v7, v1, v6
	v_add_nc_u32_e32 v6, 0xa8, v0
	v_pack_b32_f16 v1, v8, v12
	s_delay_alu instid0(VALU_DEP_3)
	v_pack_b32_f16 v5, v11, v7
	ds_store_b32 v24, v1 offset:1568
	ds_store_b32 v9, v5 offset:2464
	ds_load_b32 v10, v24 offset:1792
	ds_load_b32 v11, v9 offset:2240
	v_add_nc_u32_e32 v5, 56, v0
	v_add_nc_u32_e32 v1, 0x70, v0
	;; [unrolled: 1-line block ×4, first 2 shown]
	v_lshl_add_u32 v38, v6, 3, 0
	v_lshl_add_u32 v36, v5, 3, 0
	;; [unrolled: 1-line block ×5, first 2 shown]
	s_wait_dscnt 0x1
	v_lshrrev_b32_e32 v12, 16, v10
	s_wait_dscnt 0x0
	v_lshrrev_b32_e32 v13, 16, v11
	v_add_f16_e32 v15, v10, v11
	v_sub_f16_e32 v10, v10, v11
	s_delay_alu instid0(VALU_DEP_3) | instskip(SKIP_1) | instid1(VALU_DEP_3)
	v_add_f16_e32 v11, v13, v12
	v_sub_f16_e32 v12, v12, v13
	v_fma_f16 v13, v10, v14, v15
	v_fma_f16 v15, -v10, v14, v15
	s_delay_alu instid0(VALU_DEP_3) | instskip(SKIP_1) | instid1(VALU_DEP_4)
	v_fma_f16 v16, v11, v14, v12
	v_fma_f16 v12, v11, v14, -v12
	v_fma_f16 v13, -v4, v11, v13
	s_delay_alu instid0(VALU_DEP_4) | instskip(NEXT) | instid1(VALU_DEP_4)
	v_fmac_f16_e32 v15, v4, v11
	v_fmac_f16_e32 v16, v10, v4
	s_delay_alu instid0(VALU_DEP_4) | instskip(SKIP_1) | instid1(VALU_DEP_3)
	v_fmac_f16_e32 v12, v10, v4
	v_add_nc_u32_e32 v4, 0x200, v24
	v_pack_b32_f16 v10, v13, v16
	s_delay_alu instid0(VALU_DEP_3)
	v_pack_b32_f16 v11, v15, v12
	ds_store_b32 v24, v10 offset:1792
	ds_store_b32 v9, v11 offset:2240
	global_wb scope:SCOPE_SE
	s_wait_dscnt 0x0
	s_barrier_signal -1
	s_barrier_wait -1
	global_inv scope:SCOPE_SE
	global_wb scope:SCOPE_SE
	s_barrier_signal -1
	s_barrier_wait -1
	global_inv scope:SCOPE_SE
	ds_load_2addr_b32 v[9:10], v24 offset1:56
	ds_load_2addr_b32 v[11:12], v25 offset0:192 offset1:248
	ds_load_2addr_b32 v[13:14], v26 offset0:48 offset1:104
	;; [unrolled: 1-line block ×8, first 2 shown]
	global_wb scope:SCOPE_SE
	s_wait_dscnt 0x0
	s_barrier_signal -1
	s_barrier_wait -1
	global_inv scope:SCOPE_SE
	v_pk_add_f16 v12, v9, v12 neg_lo:[0,1] neg_hi:[0,1]
	v_pk_add_f16 v13, v10, v13 neg_lo:[0,1] neg_hi:[0,1]
	;; [unrolled: 1-line block ×9, first 2 shown]
	v_pk_fma_f16 v9, v9, 2.0, v12 op_sel_hi:[1,0,1] neg_lo:[0,0,1] neg_hi:[0,0,1]
	v_pk_fma_f16 v10, v10, 2.0, v13 op_sel_hi:[1,0,1] neg_lo:[0,0,1] neg_hi:[0,0,1]
	;; [unrolled: 1-line block ×9, first 2 shown]
	ds_store_2addr_b32 v34, v9, v12 offset1:1
	ds_store_2addr_b32 v36, v10, v13 offset1:1
	;; [unrolled: 1-line block ×9, first 2 shown]
	global_wb scope:SCOPE_SE
	s_wait_dscnt 0x0
	s_barrier_signal -1
	s_barrier_wait -1
	global_inv scope:SCOPE_SE
	global_load_b32 v34, v44, s[4:5]
	v_lshlrev_b32_e32 v36, 1, v0
	v_lshlrev_b32_e32 v38, 1, v5
	;; [unrolled: 1-line block ×6, first 2 shown]
	v_and_or_b32 v9, 0x7c, v36, v35
	v_and_or_b32 v10, 0x1fc, v39, v35
	;; [unrolled: 1-line block ×5, first 2 shown]
	v_lshl_add_u32 v44, v9, 2, 0
	v_and_or_b32 v9, 0xfc, v38, v35
	v_and_or_b32 v19, 0x3fc, v23, v35
	;; [unrolled: 1-line block ×4, first 2 shown]
	v_lshl_add_u32 v45, v10, 2, 0
	v_lshl_add_u32 v35, v9, 2, 0
	ds_load_u16 v46, v24 offset:3362
	ds_load_2addr_b32 v[9:10], v27 offset0:128 offset1:184
	v_lshl_add_u32 v47, v11, 2, 0
	ds_load_2addr_b32 v[11:12], v27 offset0:16 offset1:72
	ds_load_2addr_b32 v[13:14], v26 offset0:160 offset1:216
	v_lshl_add_u32 v48, v15, 2, 0
	ds_load_2addr_b32 v[15:16], v26 offset0:48 offset1:104
	v_lshl_add_u32 v49, v17, 2, 0
	;; [unrolled: 2-line block ×3, first 2 shown]
	v_lshl_add_u32 v51, v20, 2, 0
	v_lshl_add_u32 v52, v21, 2, 0
	ds_load_2addr_b32 v[19:20], v24 offset1:56
	ds_load_2addr_b32 v[21:22], v24 offset0:112 offset1:168
	ds_load_2addr_b32 v[28:29], v4 offset0:96 offset1:152
	;; [unrolled: 1-line block ×3, first 2 shown]
	v_and_b32_e32 v37, 3, v0
	global_wb scope:SCOPE_SE
	s_wait_loadcnt_dscnt 0x0
	s_barrier_signal -1
	s_barrier_wait -1
	global_inv scope:SCOPE_SE
	v_lshlrev_b32_e32 v43, 2, v37
	v_pk_mul_f16 v46, v46, v34 op_sel_hi:[0,1]
	v_pk_mul_f16 v53, v10, v34 op_sel:[0,1]
	v_pk_mul_f16 v54, v9, v34 op_sel:[0,1]
	;; [unrolled: 1-line block ×8, first 2 shown]
	v_pk_fma_f16 v61, v34, v12, v46 op_sel:[0,0,1] op_sel_hi:[1,1,0]
	v_pk_fma_f16 v12, v34, v12, v46 op_sel:[0,0,1] op_sel_hi:[1,0,0] neg_lo:[1,0,0] neg_hi:[1,0,0]
	v_pk_fma_f16 v46, v10, v34, v53 op_sel:[0,0,1] op_sel_hi:[1,1,0]
	v_pk_fma_f16 v10, v10, v34, v53 op_sel:[0,0,1] op_sel_hi:[1,0,0] neg_lo:[0,0,1] neg_hi:[0,0,1]
	;; [unrolled: 2-line block ×9, first 2 shown]
	v_bfi_b32 v16, 0xffff, v57, v16
	v_bfi_b32 v13, 0xffff, v56, v13
	;; [unrolled: 1-line block ×9, first 2 shown]
	v_pk_add_f16 v18, v19, v18 neg_lo:[0,1] neg_hi:[0,1]
	v_pk_add_f16 v15, v20, v15 neg_lo:[0,1] neg_hi:[0,1]
	;; [unrolled: 1-line block ×9, first 2 shown]
	v_pk_fma_f16 v19, v19, 2.0, v18 op_sel_hi:[1,0,1] neg_lo:[0,0,1] neg_hi:[0,0,1]
	v_pk_fma_f16 v20, v20, 2.0, v15 op_sel_hi:[1,0,1] neg_lo:[0,0,1] neg_hi:[0,0,1]
	;; [unrolled: 1-line block ×9, first 2 shown]
	ds_store_2addr_b32 v44, v19, v18 offset1:2
	ds_store_2addr_b32 v35, v20, v15 offset1:2
	;; [unrolled: 1-line block ×9, first 2 shown]
	global_wb scope:SCOPE_SE
	s_wait_dscnt 0x0
	s_barrier_signal -1
	s_barrier_wait -1
	global_inv scope:SCOPE_SE
	global_load_b32 v34, v43, s[4:5] offset:8
	v_and_or_b32 v9, 0x78, v36, v37
	v_and_or_b32 v13, 0x1f8, v39, v37
	;; [unrolled: 1-line block ×5, first 2 shown]
	v_lshl_add_u32 v44, v9, 2, 0
	v_and_or_b32 v9, 0xf8, v38, v37
	v_and_or_b32 v19, 0x3f8, v23, v37
	;; [unrolled: 1-line block ×4, first 2 shown]
	v_lshl_add_u32 v45, v13, 2, 0
	v_lshl_add_u32 v37, v9, 2, 0
	ds_load_2addr_b32 v[9:10], v27 offset0:16 offset1:72
	ds_load_2addr_b32 v[11:12], v27 offset0:128 offset1:184
	v_lshl_add_u32 v46, v14, 2, 0
	ds_load_2addr_b32 v[13:14], v26 offset0:160 offset1:216
	v_lshl_add_u32 v47, v15, 2, 0
	;; [unrolled: 2-line block ×4, first 2 shown]
	v_lshl_add_u32 v50, v20, 2, 0
	v_lshl_add_u32 v51, v21, 2, 0
	ds_load_2addr_b32 v[19:20], v24 offset1:56
	ds_load_2addr_b32 v[21:22], v24 offset0:112 offset1:168
	ds_load_2addr_b32 v[28:29], v4 offset0:96 offset1:152
	;; [unrolled: 1-line block ×3, first 2 shown]
	v_and_b32_e32 v35, 7, v0
	global_wb scope:SCOPE_SE
	s_wait_loadcnt_dscnt 0x0
	s_barrier_signal -1
	s_barrier_wait -1
	global_inv scope:SCOPE_SE
	v_lshlrev_b32_e32 v43, 2, v35
	v_pk_mul_f16 v52, v34, v10 op_sel:[0,1]
	v_pk_mul_f16 v53, v12, v34 op_sel:[0,1]
	;; [unrolled: 1-line block ×9, first 2 shown]
	v_pk_fma_f16 v61, v34, v10, v52 op_sel:[0,0,1] op_sel_hi:[1,1,0]
	v_pk_fma_f16 v10, v34, v10, v52 op_sel:[0,0,1] op_sel_hi:[1,0,0] neg_lo:[1,0,0] neg_hi:[1,0,0]
	v_pk_fma_f16 v52, v12, v34, v53 op_sel:[0,0,1] op_sel_hi:[1,1,0]
	v_pk_fma_f16 v12, v12, v34, v53 op_sel:[0,0,1] op_sel_hi:[1,0,0] neg_lo:[0,0,1] neg_hi:[0,0,1]
	;; [unrolled: 2-line block ×9, first 2 shown]
	v_bfi_b32 v16, 0xffff, v57, v16
	v_bfi_b32 v13, 0xffff, v56, v13
	;; [unrolled: 1-line block ×9, first 2 shown]
	v_pk_add_f16 v18, v19, v18 neg_lo:[0,1] neg_hi:[0,1]
	v_pk_add_f16 v15, v20, v15 neg_lo:[0,1] neg_hi:[0,1]
	;; [unrolled: 1-line block ×9, first 2 shown]
	v_pk_fma_f16 v19, v19, 2.0, v18 op_sel_hi:[1,0,1] neg_lo:[0,0,1] neg_hi:[0,0,1]
	v_pk_fma_f16 v20, v20, 2.0, v15 op_sel_hi:[1,0,1] neg_lo:[0,0,1] neg_hi:[0,0,1]
	;; [unrolled: 1-line block ×9, first 2 shown]
	ds_store_2addr_b32 v44, v19, v18 offset1:4
	ds_store_2addr_b32 v37, v20, v15 offset1:4
	ds_store_2addr_b32 v45, v21, v16 offset1:4
	ds_store_2addr_b32 v46, v22, v13 offset1:4
	ds_store_2addr_b32 v47, v28, v14 offset1:4
	ds_store_2addr_b32 v48, v29, v9 offset1:4
	ds_store_2addr_b32 v49, v30, v10 offset1:4
	ds_store_2addr_b32 v50, v31, v11 offset1:4
	ds_store_2addr_b32 v51, v17, v12 offset1:4
	global_wb scope:SCOPE_SE
	s_wait_dscnt 0x0
	s_barrier_signal -1
	s_barrier_wait -1
	global_inv scope:SCOPE_SE
	global_load_b32 v34, v43, s[4:5] offset:24
	v_and_or_b32 v10, 0x70, v36, v35
	v_and_or_b32 v14, 0x1f0, v39, v35
	;; [unrolled: 1-line block ×5, first 2 shown]
	v_lshl_add_u32 v44, v10, 2, 0
	v_and_or_b32 v10, 0xf0, v38, v35
	v_and_or_b32 v20, 0x3f0, v23, v35
	;; [unrolled: 1-line block ×4, first 2 shown]
	v_lshl_add_u32 v38, v14, 2, 0
	v_lshl_add_u32 v35, v10, 2, 0
	ds_load_2addr_b32 v[10:11], v27 offset0:16 offset1:72
	ds_load_2addr_b32 v[12:13], v27 offset0:128 offset1:184
	v_lshl_add_u32 v39, v15, 2, 0
	ds_load_2addr_b32 v[14:15], v26 offset0:160 offset1:216
	v_lshl_add_u32 v40, v16, 2, 0
	ds_load_2addr_b32 v[16:17], v26 offset0:48 offset1:104
	v_lshl_add_u32 v41, v18, 2, 0
	ds_load_2addr_b32 v[18:19], v25 offset0:192 offset1:248
	v_lshl_add_u32 v42, v20, 2, 0
	v_lshl_add_u32 v45, v21, 2, 0
	v_lshl_add_u32 v46, v22, 2, 0
	ds_load_2addr_b32 v[20:21], v24 offset1:56
	ds_load_2addr_b32 v[22:23], v24 offset0:112 offset1:168
	ds_load_2addr_b32 v[28:29], v4 offset0:96 offset1:152
	;; [unrolled: 1-line block ×3, first 2 shown]
	v_and_b32_e32 v9, 15, v0
	v_and_b32_e32 v37, 15, v8
	global_wb scope:SCOPE_SE
	s_wait_loadcnt_dscnt 0x0
	s_barrier_signal -1
	s_barrier_wait -1
	global_inv scope:SCOPE_SE
	v_lshlrev_b32_e32 v36, 3, v9
	v_lshlrev_b32_e32 v32, 3, v37
	v_pk_mul_f16 v47, v34, v11 op_sel:[0,1]
	v_pk_mul_f16 v48, v13, v34 op_sel:[0,1]
	;; [unrolled: 1-line block ×9, first 2 shown]
	v_pk_fma_f16 v56, v34, v11, v47 op_sel:[0,0,1] op_sel_hi:[1,1,0]
	v_pk_fma_f16 v11, v34, v11, v47 op_sel:[0,0,1] op_sel_hi:[1,0,0] neg_lo:[1,0,0] neg_hi:[1,0,0]
	v_pk_fma_f16 v47, v13, v34, v48 op_sel:[0,0,1] op_sel_hi:[1,1,0]
	v_pk_fma_f16 v13, v13, v34, v48 op_sel:[0,0,1] op_sel_hi:[1,0,0] neg_lo:[0,0,1] neg_hi:[0,0,1]
	;; [unrolled: 2-line block ×9, first 2 shown]
	v_bfi_b32 v17, 0xffff, v52, v17
	v_bfi_b32 v14, 0xffff, v51, v14
	;; [unrolled: 1-line block ×9, first 2 shown]
	v_pk_add_f16 v19, v20, v19 neg_lo:[0,1] neg_hi:[0,1]
	v_pk_add_f16 v16, v21, v16 neg_lo:[0,1] neg_hi:[0,1]
	;; [unrolled: 1-line block ×9, first 2 shown]
	v_pk_fma_f16 v20, v20, 2.0, v19 op_sel_hi:[1,0,1] neg_lo:[0,0,1] neg_hi:[0,0,1]
	v_pk_fma_f16 v21, v21, 2.0, v16 op_sel_hi:[1,0,1] neg_lo:[0,0,1] neg_hi:[0,0,1]
	;; [unrolled: 1-line block ×9, first 2 shown]
	ds_store_2addr_b32 v44, v20, v19 offset1:8
	ds_store_2addr_b32 v35, v21, v16 offset1:8
	;; [unrolled: 1-line block ×9, first 2 shown]
	v_mov_b32_e32 v13, 0
	v_and_b32_e32 v43, 15, v6
	v_and_b32_e32 v14, 15, v5
	global_wb scope:SCOPE_SE
	s_wait_dscnt 0x0
	s_barrier_signal -1
	s_barrier_wait -1
	v_lshlrev_b32_e32 v33, 3, v43
	global_inv scope:SCOPE_SE
	s_clause 0x8
	global_load_b64 v[10:11], v36, s[4:5] offset:56
	global_load_b32 v34, v32, s[4:5] offset:56
	global_load_b32 v35, v32, s[4:5] offset:58
	;; [unrolled: 1-line block ×3, first 2 shown]
	global_load_u16 v38, v33, s[4:5] offset:58
	global_load_u16 v39, v33, s[4:5] offset:62
	;; [unrolled: 1-line block ×5, first 2 shown]
	v_lshlrev_b32_e32 v12, 3, v14
	v_subrev_nc_u32_e32 v15, 48, v0
	v_lshrrev_b32_e32 v16, 4, v5
	v_lshrrev_b32_e32 v17, 4, v1
	;; [unrolled: 1-line block ×3, first 2 shown]
	global_load_u16 v41, v12, s[4:5] offset:56
	v_lshrrev_b32_e32 v20, 4, v8
	s_wait_alu 0xf1ff
	v_cndmask_b32_e64 v42, v15, v0, s0
	v_and_b32_e32 v15, 0xff, v5
	v_and_b32_e32 v21, 0xff, v1
	;; [unrolled: 1-line block ×5, first 2 shown]
	v_mul_u32_u24_e32 v16, 48, v16
	v_mul_u32_u24_e32 v17, 48, v17
	;; [unrolled: 1-line block ×4, first 2 shown]
	v_mul_lo_u16 v15, 0xab, v15
	v_mul_lo_u16 v21, 0xab, v21
	;; [unrolled: 1-line block ×3, first 2 shown]
	v_mul_u32_u24_e32 v23, 0xaaab, v23
	v_mul_u32_u24_e32 v28, 0xaaab, v28
	v_or_b32_e32 v14, v16, v14
	v_or_b32_e32 v16, v17, v9
	v_or_b32_e32 v17, v18, v43
	v_or_b32_e32 v18, v20, v37
	v_lshrrev_b16 v37, 13, v15
	v_lshrrev_b16 v43, 13, v21
	;; [unrolled: 1-line block ×3, first 2 shown]
	v_lshrrev_b32_e32 v12, 4, v0
	v_lshrrev_b32_e32 v19, 4, v7
	;; [unrolled: 1-line block ×4, first 2 shown]
	v_lshl_add_u32 v48, v14, 2, 0
	v_lshl_add_u32 v49, v16, 2, 0
	v_mul_lo_u16 v14, v37, 48
	v_mul_lo_u16 v15, v43, 48
	;; [unrolled: 1-line block ×3, first 2 shown]
	v_mul_u32_u24_e32 v12, 48, v12
	v_mul_u32_u24_e32 v19, 48, v19
	v_lshl_add_u32 v50, v17, 2, 0
	v_mul_lo_u16 v17, v46, 48
	v_lshl_add_u32 v51, v18, 2, 0
	v_mul_lo_u16 v18, v47, 48
	v_sub_nc_u16 v5, v5, v14
	v_sub_nc_u16 v14, v1, v15
	;; [unrolled: 1-line block ×3, first 2 shown]
	v_or_b32_e32 v29, v12, v9
	v_or_b32_e32 v9, v19, v9
	v_sub_nc_u16 v19, v7, v17
	v_sub_nc_u16 v28, v8, v18
	v_and_b32_e32 v52, 0xff, v5
	ds_load_2addr_b32 v[5:6], v24 offset1:56
	v_and_b32_e32 v53, 0xff, v14
	ds_load_2addr_b32 v[7:8], v24 offset0:112 offset1:168
	ds_load_2addr_b32 v[14:15], v27 offset0:16 offset1:72
	v_and_b32_e32 v54, 0xff, v16
	ds_load_2addr_b32 v[16:17], v25 offset0:192 offset1:248
	v_and_b32_e32 v55, 0xffff, v19
	ds_load_2addr_b32 v[18:19], v4 offset0:96 offset1:152
	ds_load_2addr_b32 v[20:21], v26 offset0:48 offset1:104
	;; [unrolled: 1-line block ×3, first 2 shown]
	v_lshl_add_u32 v44, v29, 2, 0
	v_and_b32_e32 v56, 0xffff, v28
	ds_load_2addr_b32 v[28:29], v25 offset0:80 offset1:136
	ds_load_2addr_b32 v[30:31], v26 offset0:160 offset1:216
	ds_load_u16 v59, v24 offset:1794
	v_lshlrev_b32_e32 v12, 1, v42
	v_lshlrev_b32_e32 v57, 3, v52
	;; [unrolled: 1-line block ×3, first 2 shown]
	v_lshl_add_u32 v9, v9, 2, 0
	global_wb scope:SCOPE_SE
	s_wait_loadcnt_dscnt 0x0
	v_lshlrev_b64_e32 v[12:13], 2, v[12:13]
	s_barrier_signal -1
	s_barrier_wait -1
	global_inv scope:SCOPE_SE
	v_lshrrev_b32_e32 v60, 16, v5
	v_lshrrev_b32_e32 v64, 16, v8
	;; [unrolled: 1-line block ×17, first 2 shown]
	v_add_co_u32 v12, s0, s4, v12
	s_wait_alu 0xf1ff
	v_add_co_ci_u32_e64 v13, s0, s5, v13, s0
	v_cmp_lt_u32_e64 s0, 47, v0
	v_lshrrev_b32_e32 v77, 16, v10
	v_lshrrev_b32_e32 v78, 16, v11
	;; [unrolled: 1-line block ×4, first 2 shown]
	v_mul_f16_e32 v82, v65, v38
	v_mul_f16_e32 v38, v17, v38
	v_lshrrev_b32_e32 v80, 16, v35
	v_mul_f16_e32 v83, v66, v39
	v_mul_f16_e32 v39, v15, v39
	;; [unrolled: 1-line block ×15, first 2 shown]
	v_fma_f16 v38, v65, v40, -v38
	v_mul_f16_e32 v65, v77, v16
	v_fmac_f16_e32 v82, v17, v40
	v_mul_f16_e32 v17, v63, v78
	v_mul_f16_e32 v40, v14, v78
	v_fma_f16 v39, v66, v33, -v39
	v_fmac_f16_e32 v83, v15, v33
	v_mul_f16_e32 v15, v68, v77
	v_mul_f16_e32 v33, v20, v77
	v_fma_f16 v35, v71, v34, -v35
	v_mul_f16_e32 v66, v69, v78
	v_mul_f16_e32 v71, v22, v78
	v_fmac_f16_e32 v84, v21, v34
	v_fmac_f16_e32 v85, v23, v36
	v_fma_f16 v21, v72, v36, -v32
	v_fmac_f16_e32 v86, v10, v28
	v_fma_f16 v23, v10, v73, -v87
	;; [unrolled: 2-line block ×9, first 2 shown]
	v_add_f16_e32 v20, v8, v82
	v_add_f16_e32 v22, v82, v83
	v_sub_f16_e32 v31, v38, v39
	v_add_f16_e32 v32, v64, v38
	v_add_f16_e32 v33, v38, v39
	v_add_f16_e32 v38, v84, v85
	v_sub_f16_e32 v40, v35, v21
	v_add_f16_e32 v41, v70, v35
	;; [unrolled: 4-line block ×3, first 2 shown]
	v_add_f16_e32 v23, v23, v28
	v_add_f16_e32 v36, v19, v84
	;; [unrolled: 1-line block ×3, first 2 shown]
	v_sub_f16_e32 v74, v29, v30
	v_add_f16_e32 v75, v61, v29
	v_add_f16_e32 v29, v29, v30
	;; [unrolled: 1-line block ×3, first 2 shown]
	v_sub_f16_e32 v79, v16, v14
	v_add_f16_e32 v80, v62, v16
	v_add_f16_e32 v16, v16, v14
	v_sub_f16_e32 v34, v82, v83
	v_sub_f16_e32 v59, v84, v85
	v_add_f16_e32 v63, v5, v86
	v_sub_f16_e32 v71, v86, v88
	v_add_f16_e32 v77, v7, v92
	v_add_f16_e32 v20, v20, v83
	v_fmac_f16_e32 v8, -0.5, v22
	v_add_f16_e32 v22, v32, v39
	v_fmac_f16_e32 v64, -0.5, v33
	v_add_f16_e32 v32, v18, v15
	v_add_f16_e32 v33, v15, v66
	v_sub_f16_e32 v39, v10, v11
	v_add_f16_e32 v82, v67, v10
	v_add_f16_e32 v10, v10, v11
	v_fmac_f16_e32 v19, -0.5, v38
	v_fmac_f16_e32 v70, -0.5, v35
	v_fma_f16 v5, -0.5, v65, v5
	v_fmac_f16_e32 v60, -0.5, v23
	v_add_f16_e32 v72, v6, v90
	v_sub_f16_e32 v76, v90, v91
	v_add_f16_e32 v36, v36, v85
	v_add_f16_e32 v21, v41, v21
	v_fmac_f16_e32 v6, -0.5, v73
	v_fmac_f16_e32 v61, -0.5, v29
	v_sub_f16_e32 v81, v92, v17
	v_fma_f16 v7, -0.5, v78, v7
	v_fmac_f16_e32 v62, -0.5, v16
	v_sub_f16_e32 v15, v15, v66
	v_add_f16_e32 v35, v63, v88
	v_add_f16_e32 v28, v69, v28
	;; [unrolled: 1-line block ×4, first 2 shown]
	v_fmamk_f16 v16, v31, 0xbaee, v8
	v_fmac_f16_e32 v8, 0x3aee, v31
	v_add_f16_e32 v31, v32, v66
	v_fma_f16 v18, -0.5, v33, v18
	v_fmac_f16_e32 v67, -0.5, v10
	v_fmamk_f16 v10, v40, 0xbaee, v19
	v_fmac_f16_e32 v19, 0x3aee, v40
	v_fmamk_f16 v32, v59, 0x3aee, v70
	v_fmac_f16_e32 v70, 0xbaee, v59
	v_pack_b32_f16 v20, v20, v22
	v_fmamk_f16 v22, v68, 0xbaee, v5
	v_fmamk_f16 v33, v71, 0x3aee, v60
	v_fmac_f16_e32 v5, 0x3aee, v68
	v_fmac_f16_e32 v60, 0xbaee, v71
	v_add_f16_e32 v23, v72, v91
	v_add_f16_e32 v30, v75, v30
	v_fmamk_f16 v29, v34, 0x3aee, v64
	v_fmac_f16_e32 v64, 0xbaee, v34
	v_pack_b32_f16 v21, v36, v21
	v_fmamk_f16 v34, v74, 0xbaee, v6
	v_fmamk_f16 v36, v76, 0x3aee, v61
	v_fmac_f16_e32 v6, 0x3aee, v74
	v_fmac_f16_e32 v61, 0xbaee, v76
	v_fmamk_f16 v38, v79, 0xbaee, v7
	v_fmac_f16_e32 v7, 0x3aee, v79
	v_fmamk_f16 v40, v81, 0x3aee, v62
	v_fmac_f16_e32 v62, 0xbaee, v81
	v_add_f16_e32 v11, v82, v11
	v_fmamk_f16 v41, v39, 0xbaee, v18
	v_fmac_f16_e32 v18, 0x3aee, v39
	v_fmamk_f16 v39, v15, 0x3aee, v67
	v_fmac_f16_e32 v67, 0xbaee, v15
	v_pack_b32_f16 v15, v35, v28
	v_pack_b32_f16 v14, v17, v14
	;; [unrolled: 1-line block ×16, first 2 shown]
	ds_store_2addr_b32 v44, v15, v19 offset1:16
	ds_store_b32 v44, v5 offset:128
	ds_store_2addr_b32 v48, v23, v22 offset1:16
	ds_store_b32 v48, v6 offset:128
	;; [unrolled: 2-line block ×6, first 2 shown]
	global_wb scope:SCOPE_SE
	s_wait_dscnt 0x0
	s_barrier_signal -1
	s_barrier_wait -1
	global_inv scope:SCOPE_SE
	s_clause 0x1
	global_load_b64 v[6:7], v[12:13], off offset:184
	global_load_b64 v[10:11], v58, s[4:5] offset:184
	v_lshlrev_b32_e32 v5, 3, v54
	v_lshlrev_b32_e32 v14, 3, v55
	global_load_b64 v[8:9], v57, s[4:5] offset:184
	v_lshlrev_b32_e32 v16, 3, v56
	s_clause 0x2
	global_load_b64 v[12:13], v5, s[4:5] offset:184
	global_load_b64 v[14:15], v14, s[4:5] offset:184
	global_load_b64 v[16:17], v16, s[4:5] offset:184
	s_wait_alu 0xf1ff
	v_cndmask_b32_e64 v5, 0, 0x240, s0
	v_lshlrev_b32_e32 v18, 2, v42
	v_and_b32_e32 v19, 0xffff, v45
	v_mul_u32_u24_e32 v28, 0x240, v46
	v_mul_u32_u24_e32 v29, 0x240, v47
	v_lshlrev_b32_e32 v34, 2, v52
	v_add3_u32 v41, 0, v5, v18
	v_and_b32_e32 v5, 0xffff, v37
	v_and_b32_e32 v18, 0xffff, v43
	v_mul_u32_u24_e32 v37, 0x240, v19
	v_lshlrev_b32_e32 v35, 2, v53
	v_lshlrev_b32_e32 v38, 2, v54
	v_mul_u32_u24_e32 v5, 0x240, v5
	v_mul_u32_u24_e32 v33, 0x240, v18
	v_lshlrev_b32_e32 v39, 2, v55
	v_lshlrev_b32_e32 v40, 2, v56
	ds_load_2addr_b32 v[18:19], v24 offset1:56
	ds_load_2addr_b32 v[20:21], v24 offset0:112 offset1:168
	ds_load_2addr_b32 v[22:23], v25 offset0:192 offset1:248
	;; [unrolled: 1-line block ×3, first 2 shown]
	v_add3_u32 v42, 0, v5, v34
	v_add3_u32 v43, 0, v33, v35
	ds_load_2addr_b32 v[4:5], v4 offset0:96 offset1:152
	ds_load_2addr_b32 v[33:34], v26 offset0:48 offset1:104
	;; [unrolled: 1-line block ×3, first 2 shown]
	v_add3_u32 v44, 0, v37, v38
	v_add3_u32 v45, 0, v28, v39
	;; [unrolled: 1-line block ×3, first 2 shown]
	ds_load_2addr_b32 v[37:38], v25 offset0:80 offset1:136
	ds_load_2addr_b32 v[39:40], v26 offset0:160 offset1:216
	v_add_nc_u32_e32 v30, 0xa00, v24
	global_wb scope:SCOPE_SE
	s_wait_loadcnt_dscnt 0x0
	s_barrier_signal -1
	s_barrier_wait -1
	global_inv scope:SCOPE_SE
	v_cmp_gt_u32_e64 s0, 32, v0
	v_lshrrev_b32_e32 v49, 16, v20
	v_lshrrev_b32_e32 v50, 16, v22
	;; [unrolled: 1-line block ×30, first 2 shown]
	v_mul_f16_e32 v75, v63, v59
	v_mul_f16_e32 v63, v63, v37
	;; [unrolled: 1-line block ×24, first 2 shown]
	v_fmac_f16_e32 v75, v6, v37
	v_fma_f16 v6, v6, v59, -v63
	v_fmac_f16_e32 v76, v7, v39
	v_fma_f16 v7, v7, v60, -v64
	;; [unrolled: 2-line block ×12, first 2 shown]
	v_add_f16_e32 v23, v75, v76
	v_sub_f16_e32 v32, v6, v7
	v_add_f16_e32 v31, v47, v6
	v_add_f16_e32 v6, v6, v7
	v_add_f16_e32 v35, v77, v78
	v_sub_f16_e32 v36, v8, v9
	v_add_f16_e32 v37, v48, v8
	v_add_f16_e32 v8, v8, v9
	v_add_f16_e32 v40, v79, v80
	v_sub_f16_e32 v50, v10, v11
	v_add_f16_e32 v51, v49, v10
	v_add_f16_e32 v10, v10, v11
	v_add_f16_e32 v55, v81, v82
	v_sub_f16_e32 v56, v12, v13
	v_add_f16_e32 v57, v52, v12
	v_add_f16_e32 v12, v12, v13
	v_add_f16_e32 v60, v83, v84
	v_sub_f16_e32 v61, v14, v15
	v_add_f16_e32 v62, v28, v14
	v_add_f16_e32 v14, v14, v15
	v_add_f16_e32 v22, v18, v75
	v_sub_f16_e32 v33, v75, v76
	v_add_f16_e32 v54, v21, v81
	v_add_f16_e32 v65, v85, v86
	v_sub_f16_e32 v66, v16, v17
	v_add_f16_e32 v67, v29, v16
	v_add_f16_e32 v16, v16, v17
	v_fma_f16 v18, -0.5, v23, v18
	v_fmac_f16_e32 v47, -0.5, v6
	v_add_f16_e32 v34, v19, v77
	v_sub_f16_e32 v38, v77, v78
	v_add_f16_e32 v39, v20, v79
	v_add_f16_e32 v59, v4, v83
	v_fmac_f16_e32 v19, -0.5, v35
	v_fmac_f16_e32 v48, -0.5, v8
	v_sub_f16_e32 v53, v79, v80
	v_sub_f16_e32 v58, v81, v82
	;; [unrolled: 1-line block ×3, first 2 shown]
	v_add_f16_e32 v64, v5, v85
	v_fma_f16 v20, -0.5, v40, v20
	v_fmac_f16_e32 v49, -0.5, v10
	v_fmac_f16_e32 v21, -0.5, v55
	v_fmac_f16_e32 v52, -0.5, v12
	v_fma_f16 v6, -0.5, v60, v4
	v_fmac_f16_e32 v28, -0.5, v14
	v_sub_f16_e32 v68, v85, v86
	v_add_f16_e32 v22, v22, v76
	v_add_f16_e32 v23, v31, v7
	;; [unrolled: 1-line block ×4, first 2 shown]
	v_fmac_f16_e32 v5, -0.5, v65
	v_fmac_f16_e32 v29, -0.5, v16
	v_fmamk_f16 v14, v32, 0xbaee, v18
	v_fmamk_f16 v16, v33, 0x3aee, v47
	v_fmac_f16_e32 v18, 0x3aee, v32
	v_fmac_f16_e32 v47, 0xbaee, v33
	v_add_f16_e32 v34, v34, v78
	v_add_f16_e32 v9, v37, v9
	;; [unrolled: 1-line block ×7, first 2 shown]
	v_fmamk_f16 v17, v36, 0xbaee, v19
	v_fmamk_f16 v33, v38, 0x3aee, v48
	v_fmac_f16_e32 v19, 0x3aee, v36
	v_fmac_f16_e32 v48, 0xbaee, v38
	v_add_f16_e32 v7, v64, v86
	v_fmamk_f16 v35, v50, 0xbaee, v20
	v_fmac_f16_e32 v20, 0x3aee, v50
	v_fmamk_f16 v36, v53, 0x3aee, v49
	v_fmac_f16_e32 v49, 0xbaee, v53
	;; [unrolled: 2-line block ×8, first 2 shown]
	v_pack_b32_f16 v22, v22, v23
	v_pack_b32_f16 v10, v10, v13
	;; [unrolled: 1-line block ×18, first 2 shown]
	ds_store_2addr_b32 v41, v22, v13 offset1:48
	ds_store_b32 v41, v14 offset:384
	ds_store_2addr_b32 v42, v9, v15 offset1:48
	ds_store_b32 v42, v16 offset:384
	;; [unrolled: 2-line block ×6, first 2 shown]
	global_wb scope:SCOPE_SE
	s_wait_dscnt 0x0
	s_barrier_signal -1
	s_barrier_wait -1
	global_inv scope:SCOPE_SE
	ds_load_2addr_b32 v[10:11], v24 offset1:56
	ds_load_2addr_b32 v[22:23], v24 offset0:144 offset1:200
	ds_load_2addr_b32 v[20:21], v25 offset0:32 offset1:88
	;; [unrolled: 1-line block ×6, first 2 shown]
                                        ; implicit-def: $vgpr33
                                        ; implicit-def: $vgpr8
                                        ; implicit-def: $vgpr36
                                        ; implicit-def: $vgpr35
                                        ; implicit-def: $vgpr34
	s_and_saveexec_b32 s1, s0
	s_cbranch_execz .LBB0_19
; %bb.18:
	v_add_nc_u32_e32 v4, 0x100, v24
	v_add_nc_u32_e32 v5, 0x600, v24
	ds_load_2addr_b32 v[8:9], v30 offset0:48 offset1:192
	ds_load_2addr_b32 v[6:7], v4 offset0:48 offset1:192
	;; [unrolled: 1-line block ×3, first 2 shown]
	ds_load_b32 v35, v24 offset:3904
	s_wait_dscnt 0x3
	v_lshrrev_b32_e32 v33, 16, v8
	v_lshrrev_b32_e32 v34, 16, v9
	s_wait_dscnt 0x2
	v_lshrrev_b32_e32 v28, 16, v6
	v_lshrrev_b32_e32 v31, 16, v7
	;; [unrolled: 3-line block ×3, first 2 shown]
	s_wait_dscnt 0x0
	v_lshrrev_b32_e32 v36, 16, v35
.LBB0_19:
	s_wait_alu 0xfffe
	s_or_b32 exec_lo, exec_lo, s1
	v_mul_u32_u24_e32 v37, 6, v0
	s_wait_dscnt 0x1
	v_lshrrev_b32_e32 v53, 16, v15
	s_wait_dscnt 0x0
	v_lshrrev_b32_e32 v54, 16, v13
	v_lshrrev_b32_e32 v55, 16, v21
	;; [unrolled: 1-line block ×3, first 2 shown]
	v_lshlrev_b32_e32 v47, 2, v37
	v_lshrrev_b32_e32 v57, 16, v12
	v_lshrrev_b32_e32 v58, 16, v14
	;; [unrolled: 1-line block ×4, first 2 shown]
	s_clause 0x3
	global_load_b128 v[37:40], v47, s[4:5] offset:568
	global_load_b64 v[45:46], v47, s[4:5] offset:584
	global_load_b128 v[41:44], v47, s[4:5] offset:1912
	global_load_b64 v[47:48], v47, s[4:5] offset:1928
	v_lshrrev_b32_e32 v61, 16, v20
	v_lshrrev_b32_e32 v62, 16, v22
	;; [unrolled: 1-line block ×6, first 2 shown]
	global_wb scope:SCOPE_SE
	s_wait_loadcnt 0x0
	s_barrier_signal -1
	s_barrier_wait -1
	global_inv scope:SCOPE_SE
	v_lshrrev_b32_e32 v63, 16, v37
	v_lshrrev_b32_e32 v64, 16, v38
	;; [unrolled: 1-line block ×12, first 2 shown]
	v_mul_f16_e32 v75, v63, v62
	v_mul_f16_e32 v63, v63, v22
	;; [unrolled: 1-line block ×24, first 2 shown]
	v_fmac_f16_e32 v75, v37, v22
	v_fma_f16 v22, v37, v62, -v63
	v_fmac_f16_e32 v76, v38, v20
	v_fma_f16 v20, v38, v61, -v64
	;; [unrolled: 2-line block ×12, first 2 shown]
	v_add_f16_e32 v37, v75, v80
	v_add_f16_e32 v38, v22, v12
	v_sub_f16_e32 v12, v22, v12
	v_add_f16_e32 v22, v76, v79
	v_add_f16_e32 v40, v20, v14
	v_sub_f16_e32 v14, v20, v14
	v_add_f16_e32 v42, v18, v16
	v_sub_f16_e32 v16, v16, v18
	v_add_f16_e32 v18, v81, v86
	v_add_f16_e32 v44, v23, v13
	v_sub_f16_e32 v13, v23, v13
	v_add_f16_e32 v23, v82, v85
	v_add_f16_e32 v46, v21, v15
	v_sub_f16_e32 v39, v75, v80
	v_sub_f16_e32 v41, v76, v79
	v_add_f16_e32 v20, v77, v78
	v_sub_f16_e32 v43, v78, v77
	v_sub_f16_e32 v47, v82, v85
	;; [unrolled: 1-line block ×3, first 2 shown]
	v_add_f16_e32 v21, v83, v84
	v_add_f16_e32 v48, v19, v17
	v_sub_f16_e32 v51, v84, v83
	v_sub_f16_e32 v17, v17, v19
	v_add_f16_e32 v19, v22, v37
	v_add_f16_e32 v52, v40, v38
	v_sub_f16_e32 v54, v40, v38
	v_sub_f16_e32 v38, v38, v42
	;; [unrolled: 1-line block ×3, first 2 shown]
	v_add_f16_e32 v56, v16, v14
	v_sub_f16_e32 v58, v16, v14
	v_sub_f16_e32 v14, v14, v12
	v_add_f16_e32 v59, v23, v18
	v_add_f16_e32 v60, v46, v44
	v_sub_f16_e32 v45, v81, v86
	v_sub_f16_e32 v53, v22, v37
	;; [unrolled: 1-line block ×4, first 2 shown]
	v_add_f16_e32 v55, v43, v41
	v_sub_f16_e32 v57, v43, v41
	v_sub_f16_e32 v16, v12, v16
	;; [unrolled: 1-line block ×9, first 2 shown]
	v_add_f16_e32 v63, v51, v47
	v_add_f16_e32 v64, v17, v15
	v_sub_f16_e32 v65, v51, v47
	v_sub_f16_e32 v66, v17, v15
	;; [unrolled: 1-line block ×3, first 2 shown]
	v_add_f16_e32 v19, v20, v19
	v_add_f16_e32 v20, v42, v52
	;; [unrolled: 1-line block ×3, first 2 shown]
	v_mul_f16_e32 v38, 0x3a52, v38
	v_mul_f16_e32 v52, 0x2b26, v40
	;; [unrolled: 1-line block ×4, first 2 shown]
	v_add_f16_e32 v21, v21, v59
	v_add_f16_e32 v48, v48, v60
	v_sub_f16_e32 v47, v47, v45
	v_sub_f16_e32 v43, v39, v43
	;; [unrolled: 1-line block ×4, first 2 shown]
	v_add_f16_e32 v39, v55, v39
	v_mul_f16_e32 v37, 0x3a52, v37
	v_mul_f16_e32 v42, 0x2b26, v22
	;; [unrolled: 1-line block ×4, first 2 shown]
	v_add_f16_e32 v45, v63, v45
	v_add_f16_e32 v13, v64, v13
	v_mul_f16_e32 v18, 0x3a52, v18
	v_mul_f16_e32 v44, 0x3a52, v44
	;; [unrolled: 1-line block ×5, first 2 shown]
	v_add_f16_e32 v10, v10, v19
	v_add_f16_e32 v49, v49, v20
	v_fmamk_f16 v40, v40, 0x2b26, v38
	v_fma_f16 v52, v54, 0x39e0, -v52
	v_fma_f16 v38, v54, 0xb9e0, -v38
	v_fmamk_f16 v54, v16, 0xb574, v56
	v_fma_f16 v14, v14, 0xbb00, -v56
	v_fma_f16 v16, v16, 0x3574, -v58
	v_add_f16_e32 v11, v11, v21
	v_add_f16_e32 v50, v50, v48
	v_mul_f16_e32 v59, 0x2b26, v23
	v_mul_f16_e32 v65, 0xbb00, v47
	;; [unrolled: 1-line block ×3, first 2 shown]
	v_fmamk_f16 v22, v22, 0x2b26, v37
	v_fma_f16 v42, v53, 0x39e0, -v42
	v_fma_f16 v37, v53, 0xb9e0, -v37
	v_fmamk_f16 v53, v43, 0xb574, v55
	v_fma_f16 v41, v41, 0xbb00, -v55
	v_fma_f16 v43, v43, 0x3574, -v57
	v_fmamk_f16 v23, v23, 0x2b26, v18
	v_fmamk_f16 v46, v46, 0x2b26, v44
	;; [unrolled: 1-line block ×4, first 2 shown]
	v_fma_f16 v15, v15, 0xbb00, -v64
	v_fma_f16 v17, v17, 0x3574, -v66
	v_fmamk_f16 v19, v19, 0xbcab, v10
	v_fmamk_f16 v20, v20, 0xbcab, v49
	v_fmac_f16_e32 v54, 0xb70e, v12
	v_fmac_f16_e32 v14, 0xb70e, v12
	;; [unrolled: 1-line block ×3, first 2 shown]
	v_fmamk_f16 v12, v21, 0xbcab, v11
	v_fmamk_f16 v21, v48, 0xbcab, v50
	v_fma_f16 v55, v61, 0x39e0, -v59
	v_fma_f16 v18, v61, 0xb9e0, -v18
	;; [unrolled: 1-line block ×6, first 2 shown]
	v_fmac_f16_e32 v53, 0xb70e, v39
	v_fmac_f16_e32 v41, 0xb70e, v39
	;; [unrolled: 1-line block ×7, first 2 shown]
	v_pack_b32_f16 v10, v10, v49
	v_pack_b32_f16 v11, v11, v50
	v_add_f16_e32 v13, v22, v19
	v_add_f16_e32 v22, v40, v20
	;; [unrolled: 1-line block ×8, first 2 shown]
	v_fmac_f16_e32 v51, 0xb70e, v45
	v_add_f16_e32 v38, v55, v12
	v_add_f16_e32 v12, v18, v12
	v_add_f16_e32 v18, v44, v21
	v_fmac_f16_e32 v47, 0xb70e, v45
	v_add_f16_e32 v42, v56, v21
	ds_store_2addr_b32 v24, v10, v11 offset1:56
	v_add_f16_e32 v10, v54, v13
	v_sub_f16_e32 v11, v22, v53
	v_add_f16_e32 v21, v16, v19
	v_sub_f16_e32 v44, v20, v43
	v_sub_f16_e32 v45, v39, v14
	v_add_f16_e32 v46, v41, v40
	v_add_f16_e32 v14, v14, v39
	v_sub_f16_e32 v39, v40, v41
	v_sub_f16_e32 v16, v19, v16
	v_add_f16_e32 v19, v43, v20
	v_add_f16_e32 v20, v53, v22
	;; [unrolled: 1-line block ×3, first 2 shown]
	v_sub_f16_e32 v40, v37, v57
	v_sub_f16_e32 v13, v13, v54
	v_add_f16_e32 v41, v17, v12
	v_sub_f16_e32 v43, v18, v51
	v_sub_f16_e32 v48, v38, v15
	v_add_f16_e32 v49, v47, v42
	v_add_f16_e32 v15, v15, v38
	v_sub_f16_e32 v38, v42, v47
	v_sub_f16_e32 v12, v12, v17
	v_add_f16_e32 v17, v51, v18
	v_sub_f16_e32 v18, v23, v58
	v_add_f16_e32 v23, v57, v37
	v_pack_b32_f16 v10, v10, v11
	v_pack_b32_f16 v16, v16, v19
	;; [unrolled: 1-line block ×12, first 2 shown]
	ds_store_2addr_b32 v24, v10, v19 offset0:144 offset1:200
	ds_store_2addr_b32 v25, v11, v20 offset0:32 offset1:88
	;; [unrolled: 1-line block ×6, first 2 shown]
	s_and_saveexec_b32 s1, s0
	s_cbranch_execz .LBB0_21
; %bb.20:
	v_subrev_nc_u32_e32 v10, 32, v0
	v_dual_mov_b32 v11, 0 :: v_dual_add_nc_u32 v16, 0x600, v24
	v_add_nc_u32_e32 v17, 0xa00, v24
	s_delay_alu instid0(VALU_DEP_3) | instskip(NEXT) | instid1(VALU_DEP_1)
	v_cndmask_b32_e64 v1, v10, v1, s0
	v_mul_i32_i24_e32 v10, 6, v1
	v_add_nc_u32_e32 v1, 0x100, v24
	s_delay_alu instid0(VALU_DEP_2) | instskip(NEXT) | instid1(VALU_DEP_1)
	v_lshlrev_b64_e32 v[10:11], 2, v[10:11]
	v_add_co_u32 v14, s0, s4, v10
	s_wait_alu 0xf1ff
	s_delay_alu instid0(VALU_DEP_2)
	v_add_co_ci_u32_e64 v15, s0, s5, v11, s0
	s_clause 0x1
	global_load_b128 v[10:13], v[14:15], off offset:568
	global_load_b64 v[14:15], v[14:15], off offset:584
	s_wait_loadcnt 0x1
	v_lshrrev_b32_e32 v18, 16, v10
	v_lshrrev_b32_e32 v19, 16, v11
	s_wait_loadcnt 0x0
	v_lshrrev_b32_e32 v20, 16, v15
	v_lshrrev_b32_e32 v22, 16, v12
	;; [unrolled: 1-line block ×4, first 2 shown]
	v_mul_f16_e32 v25, v31, v18
	v_mul_f16_e32 v26, v36, v20
	;; [unrolled: 1-line block ×12, first 2 shown]
	v_fmac_f16_e32 v25, v7, v10
	v_fmac_f16_e32 v26, v35, v15
	;; [unrolled: 1-line block ×5, first 2 shown]
	v_fma_f16 v4, v36, v15, -v20
	v_fma_f16 v5, v31, v10, -v18
	;; [unrolled: 1-line block ×4, first 2 shown]
	v_fmac_f16_e32 v27, v8, v13
	v_fma_f16 v7, v29, v12, -v22
	v_fma_f16 v8, v33, v13, -v21
	v_add_f16_e32 v14, v5, v4
	v_add_f16_e32 v18, v10, v9
	;; [unrolled: 1-line block ×4, first 2 shown]
	v_sub_f16_e32 v11, v25, v26
	v_sub_f16_e32 v12, v27, v30
	;; [unrolled: 1-line block ×3, first 2 shown]
	v_add_f16_e32 v15, v7, v8
	v_add_f16_e32 v20, v30, v27
	v_sub_f16_e32 v4, v5, v4
	v_sub_f16_e32 v5, v8, v7
	;; [unrolled: 1-line block ×3, first 2 shown]
	v_add_f16_e32 v23, v18, v14
	v_add_f16_e32 v27, v21, v19
	v_sub_f16_e32 v8, v11, v12
	v_sub_f16_e32 v9, v12, v13
	v_add_f16_e32 v10, v12, v13
	v_sub_f16_e32 v12, v14, v15
	v_sub_f16_e32 v22, v15, v18
	;; [unrolled: 1-line block ×6, first 2 shown]
	v_add_f16_e32 v5, v5, v7
	v_sub_f16_e32 v13, v13, v11
	v_sub_f16_e32 v7, v7, v4
	v_add_f16_e32 v15, v15, v23
	v_add_f16_e32 v20, v20, v27
	v_sub_f16_e32 v14, v18, v14
	v_sub_f16_e32 v18, v21, v19
	v_mul_f16_e32 v9, 0x3846, v9
	v_add_f16_e32 v10, v10, v11
	v_mul_f16_e32 v11, 0x3a52, v12
	v_mul_f16_e32 v12, 0x2b26, v22
	;; [unrolled: 1-line block ×4, first 2 shown]
	v_add_f16_e32 v4, v5, v4
	v_mul_f16_e32 v5, 0xbb00, v13
	v_mul_f16_e32 v25, 0xbb00, v7
	v_add_f16_e32 v28, v28, v15
	v_add_f16_e32 v6, v6, v20
	v_mul_f16_e32 v21, 0x2b26, v26
	v_fmamk_f16 v27, v8, 0xb574, v9
	v_fmamk_f16 v22, v22, 0x2b26, v11
	;; [unrolled: 1-line block ×4, first 2 shown]
	v_fma_f16 v5, v8, 0x3574, -v5
	v_fma_f16 v8, v14, 0xb9e0, -v11
	;; [unrolled: 1-line block ×7, first 2 shown]
	v_fmamk_f16 v14, v15, 0xbcab, v28
	v_fmamk_f16 v15, v20, 0xbcab, v6
	v_fma_f16 v13, v18, 0x39e0, -v21
	v_fmac_f16_e32 v27, 0xb70e, v10
	v_fmac_f16_e32 v30, 0xb70e, v4
	;; [unrolled: 1-line block ×6, first 2 shown]
	v_pack_b32_f16 v4, v6, v28
	v_add_f16_e32 v6, v22, v14
	v_add_f16_e32 v10, v26, v15
	;; [unrolled: 1-line block ×8, first 2 shown]
	v_sub_f16_e32 v5, v8, v5
	v_sub_f16_e32 v6, v6, v27
	v_add_f16_e32 v8, v30, v10
	v_sub_f16_e32 v15, v10, v30
	v_sub_f16_e32 v20, v12, v9
	v_add_f16_e32 v9, v9, v12
	v_add_f16_e32 v10, v19, v11
	v_sub_f16_e32 v12, v13, v7
	v_add_f16_e32 v7, v7, v13
	v_sub_f16_e32 v11, v11, v19
	v_pack_b32_f16 v6, v8, v6
	v_pack_b32_f16 v5, v10, v5
	;; [unrolled: 1-line block ×6, first 2 shown]
	ds_store_2addr_b32 v1, v4, v6 offset0:48 offset1:192
	ds_store_2addr_b32 v16, v5, v8 offset0:16 offset1:160
	;; [unrolled: 1-line block ×3, first 2 shown]
	ds_store_b32 v24, v10 offset:3904
.LBB0_21:
	s_wait_alu 0xfffe
	s_or_b32 exec_lo, exec_lo, s1
	global_wb scope:SCOPE_SE
	s_wait_dscnt 0x0
	s_barrier_signal -1
	s_barrier_wait -1
	global_inv scope:SCOPE_SE
	s_and_saveexec_b32 s0, vcc_lo
	s_cbranch_execz .LBB0_23
; %bb.22:
	v_dual_mov_b32 v1, 0 :: v_dual_add_nc_u32 v4, 56, v0
	v_add_co_u32 v30, vcc_lo, s8, v2
	s_wait_alu 0xfffd
	v_add_co_ci_u32_e32 v31, vcc_lo, s9, v3, vcc_lo
	s_delay_alu instid0(VALU_DEP_3) | instskip(SKIP_3) | instid1(VALU_DEP_4)
	v_dual_mov_b32 v5, v1 :: v_dual_add_nc_u32 v8, 0x70, v0
	v_lshlrev_b64_e32 v[2:3], 2, v[0:1]
	v_dual_mov_b32 v9, v1 :: v_dual_add_nc_u32 v10, 0xa8, v0
	v_lshl_add_u32 v28, v0, 2, 0
	v_lshlrev_b64_e32 v[4:5], 2, v[4:5]
	v_dual_mov_b32 v11, v1 :: v_dual_add_nc_u32 v14, 0xe0, v0
	v_add_co_u32 v2, vcc_lo, v30, v2
	v_lshlrev_b64_e32 v[8:9], 2, v[8:9]
	v_dual_mov_b32 v15, v1 :: v_dual_add_nc_u32 v16, 0x200, v28
	s_wait_alu 0xfffd
	v_add_co_ci_u32_e32 v3, vcc_lo, v31, v3, vcc_lo
	ds_load_2addr_b32 v[6:7], v28 offset1:56
	v_add_co_u32 v4, vcc_lo, v30, v4
	v_lshlrev_b64_e32 v[10:11], 2, v[10:11]
	v_dual_mov_b32 v19, v1 :: v_dual_add_nc_u32 v18, 0x118, v0
	v_add_nc_u32_e32 v29, 0x400, v28
	s_wait_alu 0xfffd
	v_add_co_ci_u32_e32 v5, vcc_lo, v31, v5, vcc_lo
	ds_load_2addr_b32 v[12:13], v28 offset0:112 offset1:168
	v_add_co_u32 v8, vcc_lo, v30, v8
	v_lshlrev_b64_e32 v[14:15], 2, v[14:15]
	ds_load_2addr_b32 v[16:17], v16 offset0:96 offset1:152
	v_dual_mov_b32 v21, v1 :: v_dual_add_nc_u32 v20, 0x150, v0
	s_wait_alu 0xfffd
	v_add_co_ci_u32_e32 v9, vcc_lo, v31, v9, vcc_lo
	v_add_co_u32 v10, vcc_lo, v30, v10
	v_lshlrev_b64_e32 v[18:19], 2, v[18:19]
	ds_load_2addr_b32 v[22:23], v29 offset0:80 offset1:136
	v_dual_mov_b32 v25, v1 :: v_dual_add_nc_u32 v24, 0x188, v0
	s_wait_alu 0xfffd
	v_add_co_ci_u32_e32 v11, vcc_lo, v31, v11, vcc_lo
	v_add_co_u32 v14, vcc_lo, v30, v14
	v_lshlrev_b64_e32 v[20:21], 2, v[20:21]
	s_wait_alu 0xfffd
	v_add_co_ci_u32_e32 v15, vcc_lo, v31, v15, vcc_lo
	v_add_co_u32 v18, vcc_lo, v30, v18
	v_lshlrev_b64_e32 v[24:25], 2, v[24:25]
	s_wait_alu 0xfffd
	v_add_co_ci_u32_e32 v19, vcc_lo, v31, v19, vcc_lo
	v_add_co_u32 v20, vcc_lo, v30, v20
	s_wait_alu 0xfffd
	v_add_co_ci_u32_e32 v21, vcc_lo, v31, v21, vcc_lo
	v_dual_mov_b32 v27, v1 :: v_dual_add_nc_u32 v26, 0x1c0, v0
	v_add_co_u32 v24, vcc_lo, v30, v24
	s_wait_alu 0xfffd
	v_add_co_ci_u32_e32 v25, vcc_lo, v31, v25, vcc_lo
	s_wait_dscnt 0x3
	s_clause 0x1
	global_store_b32 v[2:3], v6, off
	global_store_b32 v[4:5], v7, off
	s_wait_dscnt 0x2
	s_clause 0x1
	global_store_b32 v[8:9], v12, off
	global_store_b32 v[10:11], v13, off
	;; [unrolled: 4-line block ×4, first 2 shown]
	v_dual_mov_b32 v5, v1 :: v_dual_add_nc_u32 v4, 0x1f8, v0
	v_lshlrev_b64_e32 v[26:27], 2, v[26:27]
	v_dual_mov_b32 v9, v1 :: v_dual_add_nc_u32 v8, 0x230, v0
	v_dual_mov_b32 v11, v1 :: v_dual_add_nc_u32 v16, 0x800, v28
	s_delay_alu instid0(VALU_DEP_4)
	v_lshlrev_b64_e32 v[4:5], 2, v[4:5]
	v_dual_mov_b32 v15, v1 :: v_dual_add_nc_u32 v10, 0x268, v0
	v_add_co_u32 v6, vcc_lo, v30, v26
	v_lshlrev_b64_e32 v[8:9], 2, v[8:9]
	v_dual_mov_b32 v19, v1 :: v_dual_add_nc_u32 v14, 0x2a0, v0
	s_wait_alu 0xfffd
	v_add_co_ci_u32_e32 v7, vcc_lo, v31, v27, vcc_lo
	v_add_co_u32 v4, vcc_lo, v30, v4
	v_lshlrev_b64_e32 v[10:11], 2, v[10:11]
	v_dual_mov_b32 v21, v1 :: v_dual_add_nc_u32 v18, 0x2d8, v0
	s_wait_alu 0xfffd
	v_add_co_ci_u32_e32 v5, vcc_lo, v31, v5, vcc_lo
	v_add_co_u32 v8, vcc_lo, v30, v8
	v_lshlrev_b64_e32 v[14:15], 2, v[14:15]
	v_dual_mov_b32 v23, v1 :: v_dual_add_nc_u32 v20, 0x310, v0
	s_wait_alu 0xfffd
	v_add_co_ci_u32_e32 v9, vcc_lo, v31, v9, vcc_lo
	ds_load_2addr_b32 v[2:3], v29 offset0:192 offset1:248
	v_add_co_u32 v10, vcc_lo, v30, v10
	v_lshlrev_b64_e32 v[18:19], 2, v[18:19]
	v_dual_mov_b32 v27, v1 :: v_dual_add_nc_u32 v28, 0xc00, v28
	v_add_nc_u32_e32 v22, 0x348, v0
	ds_load_2addr_b32 v[12:13], v16 offset0:48 offset1:104
	s_wait_alu 0xfffd
	v_add_co_ci_u32_e32 v11, vcc_lo, v31, v11, vcc_lo
	v_add_co_u32 v14, vcc_lo, v30, v14
	v_lshlrev_b64_e32 v[20:21], 2, v[20:21]
	ds_load_2addr_b32 v[16:17], v16 offset0:160 offset1:216
	v_add_nc_u32_e32 v26, 0x380, v0
	s_wait_alu 0xfffd
	v_add_co_ci_u32_e32 v15, vcc_lo, v31, v15, vcc_lo
	v_add_co_u32 v18, vcc_lo, v30, v18
	ds_load_2addr_b32 v[24:25], v28 offset0:16 offset1:72
	v_lshlrev_b64_e32 v[22:23], 2, v[22:23]
	v_add_nc_u32_e32 v0, 0x3b8, v0
	s_wait_alu 0xfffd
	v_add_co_ci_u32_e32 v19, vcc_lo, v31, v19, vcc_lo
	ds_load_2addr_b32 v[28:29], v28 offset0:128 offset1:184
	v_add_co_u32 v20, vcc_lo, v30, v20
	v_lshlrev_b64_e32 v[26:27], 2, v[26:27]
	s_wait_alu 0xfffd
	v_add_co_ci_u32_e32 v21, vcc_lo, v31, v21, vcc_lo
	v_add_co_u32 v22, vcc_lo, v30, v22
	v_lshlrev_b64_e32 v[0:1], 2, v[0:1]
	s_wait_alu 0xfffd
	v_add_co_ci_u32_e32 v23, vcc_lo, v31, v23, vcc_lo
	v_add_co_u32 v26, vcc_lo, v30, v26
	s_wait_alu 0xfffd
	v_add_co_ci_u32_e32 v27, vcc_lo, v31, v27, vcc_lo
	v_add_co_u32 v0, vcc_lo, v30, v0
	s_wait_alu 0xfffd
	v_add_co_ci_u32_e32 v1, vcc_lo, v31, v1, vcc_lo
	s_wait_dscnt 0x4
	s_clause 0x1
	global_store_b32 v[6:7], v2, off
	global_store_b32 v[4:5], v3, off
	s_wait_dscnt 0x3
	s_clause 0x1
	global_store_b32 v[8:9], v12, off
	global_store_b32 v[10:11], v13, off
	;; [unrolled: 4-line block ×5, first 2 shown]
.LBB0_23:
	s_nop 0
	s_sendmsg sendmsg(MSG_DEALLOC_VGPRS)
	s_endpgm
	.section	.rodata,"a",@progbits
	.p2align	6, 0x0
	.amdhsa_kernel fft_rtc_back_len1008_factors_2_2_2_2_3_3_7_wgs_56_tpt_56_halfLds_half_ip_CI_unitstride_sbrr_C2R_dirReg
		.amdhsa_group_segment_fixed_size 0
		.amdhsa_private_segment_fixed_size 0
		.amdhsa_kernarg_size 88
		.amdhsa_user_sgpr_count 2
		.amdhsa_user_sgpr_dispatch_ptr 0
		.amdhsa_user_sgpr_queue_ptr 0
		.amdhsa_user_sgpr_kernarg_segment_ptr 1
		.amdhsa_user_sgpr_dispatch_id 0
		.amdhsa_user_sgpr_private_segment_size 0
		.amdhsa_wavefront_size32 1
		.amdhsa_uses_dynamic_stack 0
		.amdhsa_enable_private_segment 0
		.amdhsa_system_sgpr_workgroup_id_x 1
		.amdhsa_system_sgpr_workgroup_id_y 0
		.amdhsa_system_sgpr_workgroup_id_z 0
		.amdhsa_system_sgpr_workgroup_info 0
		.amdhsa_system_vgpr_workitem_id 0
		.amdhsa_next_free_vgpr 93
		.amdhsa_next_free_sgpr 32
		.amdhsa_reserve_vcc 1
		.amdhsa_float_round_mode_32 0
		.amdhsa_float_round_mode_16_64 0
		.amdhsa_float_denorm_mode_32 3
		.amdhsa_float_denorm_mode_16_64 3
		.amdhsa_fp16_overflow 0
		.amdhsa_workgroup_processor_mode 1
		.amdhsa_memory_ordered 1
		.amdhsa_forward_progress 0
		.amdhsa_round_robin_scheduling 0
		.amdhsa_exception_fp_ieee_invalid_op 0
		.amdhsa_exception_fp_denorm_src 0
		.amdhsa_exception_fp_ieee_div_zero 0
		.amdhsa_exception_fp_ieee_overflow 0
		.amdhsa_exception_fp_ieee_underflow 0
		.amdhsa_exception_fp_ieee_inexact 0
		.amdhsa_exception_int_div_zero 0
	.end_amdhsa_kernel
	.text
.Lfunc_end0:
	.size	fft_rtc_back_len1008_factors_2_2_2_2_3_3_7_wgs_56_tpt_56_halfLds_half_ip_CI_unitstride_sbrr_C2R_dirReg, .Lfunc_end0-fft_rtc_back_len1008_factors_2_2_2_2_3_3_7_wgs_56_tpt_56_halfLds_half_ip_CI_unitstride_sbrr_C2R_dirReg
                                        ; -- End function
	.section	.AMDGPU.csdata,"",@progbits
; Kernel info:
; codeLenInByte = 13592
; NumSgprs: 34
; NumVgprs: 93
; ScratchSize: 0
; MemoryBound: 0
; FloatMode: 240
; IeeeMode: 1
; LDSByteSize: 0 bytes/workgroup (compile time only)
; SGPRBlocks: 4
; VGPRBlocks: 11
; NumSGPRsForWavesPerEU: 34
; NumVGPRsForWavesPerEU: 93
; Occupancy: 16
; WaveLimiterHint : 1
; COMPUTE_PGM_RSRC2:SCRATCH_EN: 0
; COMPUTE_PGM_RSRC2:USER_SGPR: 2
; COMPUTE_PGM_RSRC2:TRAP_HANDLER: 0
; COMPUTE_PGM_RSRC2:TGID_X_EN: 1
; COMPUTE_PGM_RSRC2:TGID_Y_EN: 0
; COMPUTE_PGM_RSRC2:TGID_Z_EN: 0
; COMPUTE_PGM_RSRC2:TIDIG_COMP_CNT: 0
	.text
	.p2alignl 7, 3214868480
	.fill 96, 4, 3214868480
	.type	__hip_cuid_ebcb9b008e50e0e0,@object ; @__hip_cuid_ebcb9b008e50e0e0
	.section	.bss,"aw",@nobits
	.globl	__hip_cuid_ebcb9b008e50e0e0
__hip_cuid_ebcb9b008e50e0e0:
	.byte	0                               ; 0x0
	.size	__hip_cuid_ebcb9b008e50e0e0, 1

	.ident	"AMD clang version 19.0.0git (https://github.com/RadeonOpenCompute/llvm-project roc-6.4.0 25133 c7fe45cf4b819c5991fe208aaa96edf142730f1d)"
	.section	".note.GNU-stack","",@progbits
	.addrsig
	.addrsig_sym __hip_cuid_ebcb9b008e50e0e0
	.amdgpu_metadata
---
amdhsa.kernels:
  - .args:
      - .actual_access:  read_only
        .address_space:  global
        .offset:         0
        .size:           8
        .value_kind:     global_buffer
      - .offset:         8
        .size:           8
        .value_kind:     by_value
      - .actual_access:  read_only
        .address_space:  global
        .offset:         16
        .size:           8
        .value_kind:     global_buffer
      - .actual_access:  read_only
        .address_space:  global
        .offset:         24
        .size:           8
        .value_kind:     global_buffer
      - .offset:         32
        .size:           8
        .value_kind:     by_value
      - .actual_access:  read_only
        .address_space:  global
        .offset:         40
        .size:           8
        .value_kind:     global_buffer
      - .actual_access:  read_only
        .address_space:  global
        .offset:         48
        .size:           8
        .value_kind:     global_buffer
      - .offset:         56
        .size:           4
        .value_kind:     by_value
      - .actual_access:  read_only
        .address_space:  global
        .offset:         64
        .size:           8
        .value_kind:     global_buffer
      - .actual_access:  read_only
        .address_space:  global
        .offset:         72
        .size:           8
        .value_kind:     global_buffer
      - .address_space:  global
        .offset:         80
        .size:           8
        .value_kind:     global_buffer
    .group_segment_fixed_size: 0
    .kernarg_segment_align: 8
    .kernarg_segment_size: 88
    .language:       OpenCL C
    .language_version:
      - 2
      - 0
    .max_flat_workgroup_size: 56
    .name:           fft_rtc_back_len1008_factors_2_2_2_2_3_3_7_wgs_56_tpt_56_halfLds_half_ip_CI_unitstride_sbrr_C2R_dirReg
    .private_segment_fixed_size: 0
    .sgpr_count:     34
    .sgpr_spill_count: 0
    .symbol:         fft_rtc_back_len1008_factors_2_2_2_2_3_3_7_wgs_56_tpt_56_halfLds_half_ip_CI_unitstride_sbrr_C2R_dirReg.kd
    .uniform_work_group_size: 1
    .uses_dynamic_stack: false
    .vgpr_count:     93
    .vgpr_spill_count: 0
    .wavefront_size: 32
    .workgroup_processor_mode: 1
amdhsa.target:   amdgcn-amd-amdhsa--gfx1201
amdhsa.version:
  - 1
  - 2
...

	.end_amdgpu_metadata
